;; amdgpu-corpus repo=ROCm/rocFFT kind=compiled arch=gfx1201 opt=O3
	.text
	.amdgcn_target "amdgcn-amd-amdhsa--gfx1201"
	.amdhsa_code_object_version 6
	.protected	bluestein_single_back_len8192_dim1_sp_op_CI_CI ; -- Begin function bluestein_single_back_len8192_dim1_sp_op_CI_CI
	.globl	bluestein_single_back_len8192_dim1_sp_op_CI_CI
	.p2align	8
	.type	bluestein_single_back_len8192_dim1_sp_op_CI_CI,@function
bluestein_single_back_len8192_dim1_sp_op_CI_CI: ; @bluestein_single_back_len8192_dim1_sp_op_CI_CI
; %bb.0:
	s_load_b128 s[12:15], s[0:1], 0x28
	s_mov_b32 s2, ttmp9
	s_mov_b32 s3, 0
	s_mov_b32 s5, exec_lo
	s_wait_kmcnt 0x0
	v_cmpx_lt_u64_e64 s[2:3], s[12:13]
	s_cbranch_execz .LBB0_2
; %bb.1:
	s_load_b128 s[4:7], s[0:1], 0x18
	v_dual_mov_b32 v90, s3 :: v_dual_mov_b32 v89, s2
	v_lshlrev_b32_e32 v138, 3, v0
	s_wait_kmcnt 0x0
	s_load_b128 s[16:19], s[4:5], 0x0
	s_clause 0x1
	s_load_b128 s[8:11], s[0:1], 0x0
	s_load_b64 s[0:1], s[0:1], 0x38
	s_wait_kmcnt 0x0
	s_clause 0x1
	global_load_b64 v[57:58], v138, s[8:9]
	global_load_b64 v[59:60], v138, s[8:9] offset:4096
	v_mad_co_u64_u32 v[1:2], null, s18, v89, 0
	v_mad_co_u64_u32 v[3:4], null, s16, v0, 0
	s_lshl_b64 s[2:3], s[16:17], 12
	s_clause 0xa
	global_load_b64 v[61:62], v138, s[8:9] offset:8192
	global_load_b64 v[63:64], v138, s[8:9] offset:12288
	;; [unrolled: 1-line block ×11, first 2 shown]
	v_mad_co_u64_u32 v[102:103], null, v0, 56, s[10:11]
	v_mad_co_u64_u32 v[5:6], null, s19, v89, v[2:3]
	s_delay_alu instid0(VALU_DEP_1) | instskip(SKIP_1) | instid1(VALU_DEP_1)
	v_mad_co_u64_u32 v[6:7], null, s17, v0, v[4:5]
	v_mov_b32_e32 v2, v5
	v_lshlrev_b64_e32 v[1:2], 3, v[1:2]
	s_delay_alu instid0(VALU_DEP_3) | instskip(NEXT) | instid1(VALU_DEP_1)
	v_mov_b32_e32 v4, v6
	v_lshlrev_b64_e32 v[3:4], 3, v[3:4]
	s_delay_alu instid0(VALU_DEP_3) | instskip(NEXT) | instid1(VALU_DEP_4)
	v_add_co_u32 v1, vcc_lo, s14, v1
	v_add_co_ci_u32_e32 v2, vcc_lo, s15, v2, vcc_lo
	s_delay_alu instid0(VALU_DEP_2) | instskip(SKIP_1) | instid1(VALU_DEP_2)
	v_add_co_u32 v1, vcc_lo, v1, v3
	s_wait_alu 0xfffd
	v_add_co_ci_u32_e32 v2, vcc_lo, v2, v4, vcc_lo
	s_wait_alu 0xfffe
	s_delay_alu instid0(VALU_DEP_2) | instskip(SKIP_1) | instid1(VALU_DEP_2)
	v_add_co_u32 v3, vcc_lo, v1, s2
	s_wait_alu 0xfffd
	v_add_co_ci_u32_e32 v4, vcc_lo, s3, v2, vcc_lo
	global_load_b64 v[1:2], v[1:2], off
	v_add_co_u32 v5, vcc_lo, v3, s2
	s_wait_alu 0xfffd
	v_add_co_ci_u32_e32 v6, vcc_lo, s3, v4, vcc_lo
	global_load_b64 v[3:4], v[3:4], off
	;; [unrolled: 4-line block ×14, first 2 shown]
	v_add_co_u32 v31, vcc_lo, v29, s2
	s_wait_alu 0xfffd
	v_add_co_ci_u32_e32 v32, vcc_lo, s3, v30, vcc_lo
	s_add_nc_u64 s[2:3], s[8:9], 0x10000
	s_wait_loadcnt 0xd
	v_mul_f32_e32 v33, v2, v58
	s_clause 0x1
	global_load_b64 v[83:84], v138, s[8:9] offset:53248
	global_load_b64 v[85:86], v138, s[8:9] offset:57344
	global_load_b64 v[29:30], v[29:30], off
	global_load_b64 v[87:88], v138, s[8:9] offset:61440
	global_load_b64 v[31:32], v[31:32], off
	v_mul_f32_e32 v34, v1, v58
	s_load_b128 s[4:7], s[6:7], 0x0
	v_fmac_f32_e32 v33, v1, v57
	s_wait_loadcnt 0x11
	v_mul_f32_e32 v1, v4, v60
	s_wait_loadcnt 0x10
	v_mul_f32_e32 v35, v6, v62
	s_delay_alu instid0(VALU_DEP_2)
	v_fmac_f32_e32 v1, v3, v59
	v_fma_f32 v34, v2, v57, -v34
	v_mul_f32_e32 v2, v3, v60
	s_wait_loadcnt 0xf
	v_dual_mul_f32 v36, v5, v62 :: v_dual_mul_f32 v3, v8, v64
	v_fmac_f32_e32 v35, v5, v61
	s_delay_alu instid0(VALU_DEP_3) | instskip(SKIP_1) | instid1(VALU_DEP_4)
	v_fma_f32 v2, v4, v59, -v2
	v_mul_f32_e32 v4, v7, v64
	v_fma_f32 v36, v6, v61, -v36
	s_wait_loadcnt 0xe
	v_dual_fmac_f32 v3, v7, v63 :: v_dual_mul_f32 v6, v9, v66
	v_mul_f32_e32 v5, v10, v66
	v_fma_f32 v4, v8, v63, -v4
	s_wait_loadcnt 0xd
	v_mul_f32_e32 v7, v12, v68
	v_mul_f32_e32 v37, v11, v68
	v_fma_f32 v6, v10, v65, -v6
	ds_store_2addr_stride64_b64 v138, v[33:34], v[1:2] offset1:8
	ds_store_2addr_stride64_b64 v138, v[35:36], v[3:4] offset0:16 offset1:24
	s_wait_loadcnt 0xc
	v_dual_mul_f32 v2, v13, v70 :: v_dual_fmac_f32 v7, v11, v67
	v_fma_f32 v8, v12, v67, -v37
	s_wait_loadcnt 0xb
	v_dual_mul_f32 v1, v14, v70 :: v_dual_mul_f32 v4, v15, v72
	v_fmac_f32_e32 v5, v9, v65
	v_mul_f32_e32 v3, v16, v72
	v_fma_f32 v2, v14, v69, -v2
	s_delay_alu instid0(VALU_DEP_4)
	v_fma_f32 v4, v16, v71, -v4
	s_wait_loadcnt 0x8
	v_mul_f32_e32 v10, v21, v78
	ds_store_2addr_stride64_b64 v138, v[5:6], v[7:8] offset0:32 offset1:40
	v_mul_f32_e32 v5, v18, v74
	v_dual_mul_f32 v6, v17, v74 :: v_dual_mul_f32 v7, v20, v76
	v_dual_mul_f32 v8, v19, v76 :: v_dual_mul_f32 v9, v22, v78
	s_wait_loadcnt 0x7
	v_mul_f32_e32 v11, v24, v80
	v_dual_mul_f32 v12, v23, v80 :: v_dual_fmac_f32 v1, v13, v69
	s_wait_loadcnt 0x6
	v_mul_f32_e32 v13, v26, v82
	v_dual_mul_f32 v14, v25, v82 :: v_dual_fmac_f32 v3, v15, v71
	v_fma_f32 v6, v18, v73, -v6
	v_fmac_f32_e32 v7, v19, v75
	v_fma_f32 v8, v20, v75, -v8
	v_fmac_f32_e32 v9, v21, v77
	;; [unrolled: 2-line block ×4, first 2 shown]
	v_fma_f32 v14, v26, v81, -v14
	s_wait_loadcnt 0x2
	v_dual_mul_f32 v18, v29, v86 :: v_dual_mul_f32 v15, v28, v84
	v_mul_f32_e32 v16, v27, v84
	s_wait_loadcnt 0x0
	v_mul_f32_e32 v19, v32, v88
	v_dual_mul_f32 v20, v31, v88 :: v_dual_fmac_f32 v5, v17, v73
	v_mul_f32_e32 v17, v30, v86
	v_fmac_f32_e32 v15, v27, v83
	v_fma_f32 v16, v28, v83, -v16
	v_fma_f32 v18, v30, v85, -v18
	v_fmac_f32_e32 v19, v31, v87
	v_fmac_f32_e32 v17, v29, v85
	v_fma_f32 v20, v32, v87, -v20
	ds_store_2addr_stride64_b64 v138, v[1:2], v[3:4] offset0:48 offset1:56
	ds_store_2addr_stride64_b64 v138, v[5:6], v[7:8] offset0:64 offset1:72
	;; [unrolled: 1-line block ×5, first 2 shown]
	global_wb scope:SCOPE_SE
	s_wait_dscnt 0x0
	s_wait_kmcnt 0x0
	s_barrier_signal -1
	s_barrier_wait -1
	global_inv scope:SCOPE_SE
	ds_load_2addr_stride64_b64 v[1:4], v138 offset1:8
	ds_load_2addr_stride64_b64 v[5:8], v138 offset0:64 offset1:72
	ds_load_2addr_stride64_b64 v[9:12], v138 offset0:32 offset1:40
	;; [unrolled: 1-line block ×7, first 2 shown]
	global_wb scope:SCOPE_SE
	s_wait_dscnt 0x0
	s_barrier_signal -1
	s_barrier_wait -1
	global_inv scope:SCOPE_SE
	v_sub_f32_e32 v6, v2, v6
	v_sub_f32_e32 v8, v4, v8
	v_dual_sub_f32 v14, v10, v14 :: v_dual_sub_f32 v15, v11, v15
	v_sub_f32_e32 v22, v18, v22
	v_sub_f32_e32 v16, v12, v16
	;; [unrolled: 1-line block ×5, first 2 shown]
	v_fma_f32 v18, v18, 2.0, -v22
	v_fma_f32 v2, v2, 2.0, -v6
	;; [unrolled: 1-line block ×7, first 2 shown]
	v_dual_sub_f32 v26, v18, v26 :: v_dual_sub_f32 v7, v3, v7
	v_fma_f32 v20, v20, 2.0, -v24
	v_fma_f32 v28, v28, 2.0, -v32
	v_dual_sub_f32 v5, v1, v5 :: v_dual_sub_f32 v10, v2, v10
	s_delay_alu instid0(VALU_DEP_4) | instskip(SKIP_1) | instid1(VALU_DEP_4)
	v_fma_f32 v3, v3, 2.0, -v7
	v_sub_f32_e32 v12, v4, v12
	v_sub_f32_e32 v28, v20, v28
	s_delay_alu instid0(VALU_DEP_4)
	v_fma_f32 v1, v1, 2.0, -v5
	v_fma_f32 v41, v2, 2.0, -v10
	v_sub_f32_e32 v11, v3, v11
	v_sub_f32_e32 v29, v25, v29
	v_fma_f32 v2, v18, 2.0, -v26
	v_fma_f32 v18, v4, 2.0, -v12
	;; [unrolled: 1-line block ×3, first 2 shown]
	v_sub_f32_e32 v28, v11, v28
	v_fma_f32 v25, v25, 2.0, -v29
	v_add_f32_e32 v29, v22, v29
	v_sub_f32_e32 v23, v19, v23
	v_dual_add_f32 v15, v8, v15 :: v_dual_sub_f32 v14, v5, v14
	s_delay_alu instid0(VALU_DEP_3) | instskip(NEXT) | instid1(VALU_DEP_3)
	v_fma_f32 v22, v22, 2.0, -v29
	v_dual_sub_f32 v13, v9, v13 :: v_dual_sub_f32 v32, v23, v32
	v_fma_f32 v19, v19, 2.0, -v23
	s_delay_alu instid0(VALU_DEP_4) | instskip(SKIP_1) | instid1(VALU_DEP_4)
	v_fma_f32 v8, v8, 2.0, -v15
	v_fma_f32 v5, v5, 2.0, -v14
	;; [unrolled: 1-line block ×4, first 2 shown]
	s_delay_alu instid0(VALU_DEP_2) | instskip(NEXT) | instid1(VALU_DEP_1)
	v_sub_f32_e32 v9, v1, v9
	v_sub_f32_e32 v26, v9, v26
	;; [unrolled: 1-line block ×3, first 2 shown]
	v_lshlrev_b32_e32 v139, 7, v0
	v_fma_f32 v40, v1, 2.0, -v9
	s_delay_alu instid0(VALU_DEP_3) | instskip(SKIP_1) | instid1(VALU_DEP_2)
	v_dual_fmamk_f32 v38, v32, 0x3f3504f3, v16 :: v_dual_add_f32 v13, v6, v13
	v_fma_f32 v7, v7, 2.0, -v16
	v_fma_f32 v6, v6, 2.0, -v13
	s_delay_alu instid0(VALU_DEP_1) | instskip(NEXT) | instid1(VALU_DEP_1)
	v_dual_fmamk_f32 v20, v22, 0xbf3504f3, v6 :: v_dual_sub_f32 v31, v27, v31
	v_fma_f32 v27, v27, 2.0, -v31
	v_add_f32_e32 v31, v24, v31
	s_delay_alu instid0(VALU_DEP_1) | instskip(SKIP_3) | instid1(VALU_DEP_3)
	v_fma_f32 v24, v24, 2.0, -v31
	v_sub_f32_e32 v21, v17, v21
	v_fmamk_f32 v39, v31, 0x3f3504f3, v15
	v_fmac_f32_e32 v38, 0xbf3504f3, v31
	v_fma_f32 v17, v17, 2.0, -v21
	s_delay_alu instid0(VALU_DEP_3) | instskip(SKIP_1) | instid1(VALU_DEP_3)
	v_dual_fmac_f32 v39, 0x3f3504f3, v32 :: v_dual_sub_f32 v32, v41, v2
	v_dual_sub_f32 v27, v19, v27 :: v_dual_sub_f32 v30, v21, v30
	v_sub_f32_e32 v25, v17, v25
	v_and_b32_e32 v35, 15, v0
	s_delay_alu instid0(VALU_DEP_4) | instskip(NEXT) | instid1(VALU_DEP_4)
	v_fma_f32 v41, v41, 2.0, -v32
	v_fmamk_f32 v36, v30, 0x3f3504f3, v14
	s_delay_alu instid0(VALU_DEP_4)
	v_fma_f32 v1, v17, 2.0, -v25
	v_fma_f32 v17, v3, 2.0, -v11
	;; [unrolled: 1-line block ×3, first 2 shown]
	v_add_f32_e32 v25, v10, v25
	v_fma_f32 v21, v21, 2.0, -v30
	v_mad_co_u64_u32 v[33:34], null, v35, 24, s[10:11]
	s_delay_alu instid0(VALU_DEP_3) | instskip(SKIP_4) | instid1(VALU_DEP_3)
	v_fma_f32 v43, v10, 2.0, -v25
	v_sub_f32_e32 v10, v17, v3
	v_fmamk_f32 v37, v29, 0x3f3504f3, v13
	v_dual_fmamk_f32 v19, v21, 0xbf3504f3, v5 :: v_dual_fmac_f32 v36, 0xbf3504f3, v29
	v_fmamk_f32 v29, v23, 0xbf3504f3, v7
	v_dual_fmac_f32 v20, 0x3f3504f3, v21 :: v_dual_fmac_f32 v37, 0x3f3504f3, v30
	s_delay_alu instid0(VALU_DEP_3) | instskip(NEXT) | instid1(VALU_DEP_3)
	v_dual_fmamk_f32 v30, v24, 0xbf3504f3, v8 :: v_dual_fmac_f32 v19, 0xbf3504f3, v22
	v_fmac_f32_e32 v29, 0xbf3504f3, v24
	v_fma_f32 v44, v14, 2.0, -v36
	s_delay_alu instid0(VALU_DEP_4) | instskip(NEXT) | instid1(VALU_DEP_4)
	v_fma_f32 v45, v13, 2.0, -v37
	v_fmac_f32_e32 v30, 0x3f3504f3, v23
	v_fma_f32 v42, v9, 2.0, -v26
	v_fma_f32 v23, v16, 2.0, -v38
	v_dual_sub_f32 v9, v18, v4 :: v_dual_fmamk_f32 v4, v39, 0x3f6c835e, v37
	v_fma_f32 v13, v17, 2.0, -v10
	v_add_f32_e32 v10, v32, v10
	v_add_f32_e32 v27, v12, v27
	v_fma_f32 v49, v8, 2.0, -v30
	v_fmac_f32_e32 v4, 0x3ec3ef15, v38
	v_fma_f32 v46, v5, 2.0, -v19
	v_fma_f32 v47, v6, 2.0, -v20
	;; [unrolled: 1-line block ×3, first 2 shown]
	v_fmamk_f32 v12, v30, 0x3ec3ef15, v20
	v_fmamk_f32 v2, v27, 0x3f3504f3, v25
	v_fma_f32 v24, v15, 2.0, -v39
	v_dual_sub_f32 v31, v40, v1 :: v_dual_fmamk_f32 v16, v49, 0xbf6c835e, v47
	v_fma_f32 v48, v7, 2.0, -v29
	v_fmamk_f32 v1, v28, 0x3f3504f3, v26
	s_delay_alu instid0(VALU_DEP_4)
	v_fmamk_f32 v8, v24, 0xbec3ef15, v45
	v_fma_f32 v21, v11, 2.0, -v28
	v_fmamk_f32 v3, v38, 0x3f6c835e, v36
	v_fmamk_f32 v11, v29, 0x3ec3ef15, v19
	;; [unrolled: 1-line block ×5, first 2 shown]
	v_fma_f32 v40, v40, 2.0, -v31
	v_fmamk_f32 v15, v48, 0xbf6c835e, v46
	v_fmac_f32_e32 v8, 0x3f6c835e, v23
	v_fma_f32 v14, v18, 2.0, -v9
	v_dual_sub_f32 v9, v31, v9 :: v_dual_fmac_f32 v16, 0x3ec3ef15, v48
	v_fmac_f32_e32 v1, 0xbf3504f3, v27
	v_fmac_f32_e32 v2, 0x3f3504f3, v28
	;; [unrolled: 1-line block ×8, first 2 shown]
	v_dual_sub_f32 v13, v40, v13 :: v_dual_sub_f32 v14, v41, v14
	v_fmac_f32_e32 v15, 0xbec3ef15, v49
	v_fma_f32 v17, v31, 2.0, -v9
	v_fma_f32 v18, v32, 2.0, -v10
	;; [unrolled: 1-line block ×12, first 2 shown]
	ds_store_b128 v139, v[1:4] offset:112
	v_fma_f32 v1, v40, 2.0, -v13
	v_fma_f32 v2, v41, 2.0, -v14
	;; [unrolled: 1-line block ×4, first 2 shown]
	ds_store_b128 v139, v[9:12] offset:96
	ds_store_b128 v139, v[21:24] offset:48
	;; [unrolled: 1-line block ×6, first 2 shown]
	ds_store_b128 v139, v[1:4]
	global_wb scope:SCOPE_SE
	s_wait_dscnt 0x0
	s_barrier_signal -1
	s_barrier_wait -1
	global_inv scope:SCOPE_SE
	s_clause 0x1
	global_load_b128 v[1:4], v[33:34], off
	global_load_b64 v[90:91], v[33:34], off offset:16
	v_lshlrev_b32_e32 v5, 2, v0
	s_delay_alu instid0(VALU_DEP_1) | instskip(SKIP_3) | instid1(VALU_DEP_4)
	v_or_b32_e32 v9, 0x1000, v5
	v_or_b32_e32 v6, 0x800, v5
	v_or_b32_e32 v13, 0x1800, v5
	v_and_or_b32 v17, 0x7c0, v5, v35
	v_and_or_b32 v19, 0x17c0, v9, v35
	ds_load_2addr_stride64_b64 v[9:12], v138 offset0:64 offset1:72
	v_and_or_b32 v18, 0xfc0, v6, v35
	v_and_or_b32 v20, 0x1fc0, v13, v35
	ds_load_2addr_stride64_b64 v[5:8], v138 offset0:32 offset1:40
	ds_load_2addr_stride64_b64 v[13:16], v138 offset0:96 offset1:104
	v_lshlrev_b32_e32 v140, 3, v17
	v_lshlrev_b32_e32 v142, 3, v19
	;; [unrolled: 1-line block ×3, first 2 shown]
	s_wait_loadcnt_dscnt 0x101
	v_dual_mul_f32 v49, v11, v4 :: v_dual_mul_f32 v40, v5, v2
	v_mul_f32_e32 v42, v10, v4
	s_wait_loadcnt_dscnt 0x0
	v_mul_f32_e32 v44, v14, v91
	v_mul_f32_e32 v46, v8, v2
	v_fmac_f32_e32 v49, v12, v3
	v_mul_f32_e32 v43, v9, v4
	v_mul_f32_e32 v48, v12, v4
	v_dual_mul_f32 v50, v16, v91 :: v_dual_mul_f32 v39, v6, v2
	v_fmac_f32_e32 v40, v6, v1
	s_delay_alu instid0(VALU_DEP_4)
	v_fmac_f32_e32 v43, v10, v3
	v_lshlrev_b32_e32 v141, 3, v18
	ds_load_2addr_stride64_b64 v[17:20], v138 offset1:8
	ds_load_2addr_stride64_b64 v[21:24], v138 offset0:48 offset1:56
	ds_load_2addr_stride64_b64 v[25:28], v138 offset0:16 offset1:24
	;; [unrolled: 1-line block ×4, first 2 shown]
	v_fma_f32 v6, v9, v3, -v42
	v_fma_f32 v9, v13, v90, -v44
	;; [unrolled: 1-line block ×4, first 2 shown]
	global_wb scope:SCOPE_SE
	s_wait_dscnt 0x0
	s_barrier_signal -1
	s_barrier_wait -1
	global_inv scope:SCOPE_SE
	v_mul_f32_e32 v52, v22, v2
	v_dual_mul_f32 v94, v23, v2 :: v_dual_mul_f32 v55, v29, v4
	v_mul_f32_e32 v54, v30, v4
	v_mul_f32_e32 v56, v34, v91
	;; [unrolled: 1-line block ×3, first 2 shown]
	v_and_b32_e32 v41, 63, v0
	v_fmac_f32_e32 v55, v30, v3
	v_mul_f32_e32 v47, v7, v2
	v_fma_f32 v7, v7, v1, -v46
	v_mul_f32_e32 v45, v13, v91
	v_fma_f32 v12, v29, v3, -v54
	v_fma_f32 v13, v33, v90, -v56
	v_fmac_f32_e32 v96, v32, v3
	v_mul_f32_e32 v51, v15, v91
	v_dual_sub_f32 v30, v26, v55 :: v_dual_fmac_f32 v47, v8, v1
	v_fma_f32 v8, v11, v3, -v48
	v_fma_f32 v11, v21, v1, -v52
	v_mul_f32_e32 v95, v32, v4
	v_sub_f32_e32 v29, v25, v12
	v_dual_sub_f32 v32, v28, v96 :: v_dual_fmac_f32 v45, v14, v90
	v_fmac_f32_e32 v51, v16, v90
	v_dual_mul_f32 v53, v21, v2 :: v_dual_sub_f32 v12, v11, v13
	v_dual_mul_f32 v93, v24, v2 :: v_dual_mul_f32 v92, v33, v91
	v_sub_f32_e32 v21, v17, v6
	v_sub_f32_e32 v6, v5, v9
	;; [unrolled: 1-line block ×3, first 2 shown]
	s_delay_alu instid0(VALU_DEP_4)
	v_fma_f32 v14, v23, v1, -v93
	v_sub_f32_e32 v23, v19, v8
	v_sub_f32_e32 v8, v7, v10
	v_dual_sub_f32 v10, v47, v51 :: v_dual_fmac_f32 v53, v22, v1
	v_sub_f32_e32 v22, v18, v43
	v_mul_f32_e32 v98, v35, v91
	v_fmac_f32_e32 v92, v34, v90
	v_fmac_f32_e32 v94, v24, v1
	v_fma_f32 v33, v17, 2.0, -v21
	v_fma_f32 v34, v18, 2.0, -v22
	;; [unrolled: 1-line block ×3, first 2 shown]
	v_mul_f32_e32 v97, v36, v91
	v_fmac_f32_e32 v98, v36, v90
	v_fma_f32 v17, v5, 2.0, -v6
	v_add_f32_e32 v6, v22, v6
	v_fma_f32 v15, v31, v3, -v95
	v_fma_f32 v16, v35, v90, -v97
	v_dual_sub_f32 v13, v53, v92 :: v_dual_sub_f32 v24, v20, v49
	v_fma_f32 v40, v26, 2.0, -v30
	s_delay_alu instid0(VALU_DEP_4) | instskip(NEXT) | instid1(VALU_DEP_4)
	v_sub_f32_e32 v31, v27, v15
	v_sub_f32_e32 v15, v14, v16
	;; [unrolled: 1-line block ×3, first 2 shown]
	v_fma_f32 v26, v53, 2.0, -v13
	v_fma_f32 v43, v28, 2.0, -v32
	;; [unrolled: 1-line block ×8, first 2 shown]
	v_sub_f32_e32 v11, v31, v16
	v_fma_f32 v16, v22, 2.0, -v6
	v_sub_f32_e32 v22, v40, v26
	v_sub_f32_e32 v26, v43, v28
	v_fma_f32 v20, v47, 2.0, -v10
	v_sub_f32_e32 v5, v21, v9
	v_fma_f32 v42, v27, 2.0, -v31
	v_fma_f32 v27, v14, 2.0, -v15
	v_mad_co_u64_u32 v[37:38], null, 0x78, v41, s[10:11]
	v_dual_sub_f32 v7, v23, v10 :: v_dual_add_f32 v8, v24, v8
	v_dual_sub_f32 v9, v29, v13 :: v_dual_add_f32 v10, v30, v12
	v_dual_add_f32 v12, v32, v15 :: v_dual_sub_f32 v13, v33, v17
	v_dual_sub_f32 v14, v34, v18 :: v_dual_sub_f32 v17, v35, v19
	v_sub_f32_e32 v18, v36, v20
	v_fma_f32 v15, v21, 2.0, -v5
	v_sub_f32_e32 v21, v39, v25
	v_sub_f32_e32 v25, v42, v27
	v_fma_f32 v19, v23, 2.0, -v7
	v_fma_f32 v20, v24, 2.0, -v8
	;; [unrolled: 1-line block ×14, first 2 shown]
	ds_store_2addr_b64 v140, v[13:14], v[5:6] offset0:32 offset1:48
	ds_store_2addr_b64 v141, v[17:18], v[7:8] offset0:32 offset1:48
	;; [unrolled: 1-line block ×4, first 2 shown]
	ds_store_2addr_b64 v140, v[29:30], v[15:16] offset1:16
	ds_store_2addr_b64 v141, v[31:32], v[19:20] offset1:16
	ds_store_2addr_b64 v142, v[33:34], v[23:24] offset1:16
	ds_store_2addr_b64 v143, v[35:36], v[27:28] offset1:16
	global_wb scope:SCOPE_SE
	s_wait_dscnt 0x0
	s_barrier_signal -1
	s_barrier_wait -1
	global_inv scope:SCOPE_SE
	s_clause 0x7
	global_load_b128 v[17:20], v[37:38], off offset:384
	global_load_b128 v[13:16], v[37:38], off offset:400
	;; [unrolled: 1-line block ×7, first 2 shown]
	global_load_b64 v[92:93], v[37:38], off offset:496
	v_lshlrev_b32_e32 v42, 4, v0
	ds_load_2addr_stride64_b64 v[33:36], v138 offset1:8
	ds_load_2addr_stride64_b64 v[37:40], v138 offset0:16 offset1:24
	v_and_or_b32 v45, 0x1c00, v42, v41
	ds_load_2addr_stride64_b64 v[41:44], v138 offset0:32 offset1:40
	v_lshlrev_b32_e32 v144, 3, v45
	ds_load_2addr_stride64_b64 v[45:48], v138 offset0:48 offset1:56
	ds_load_2addr_stride64_b64 v[49:52], v138 offset0:64 offset1:72
	;; [unrolled: 1-line block ×5, first 2 shown]
	global_wb scope:SCOPE_SE
	s_wait_loadcnt_dscnt 0x0
	s_barrier_signal -1
	s_barrier_wait -1
	global_inv scope:SCOPE_SE
	v_dual_mul_f32 v105, v35, v18 :: v_dual_mul_f32 v106, v38, v20
	v_mul_f32_e32 v104, v36, v18
	v_dual_mul_f32 v116, v48, v6 :: v_dual_mul_f32 v123, v53, v32
	v_mul_f32_e32 v122, v54, v32
	;; [unrolled: 2-line block ×3, first 2 shown]
	v_fmac_f32_e32 v105, v36, v17
	v_dual_fmac_f32 v123, v54, v31 :: v_dual_mul_f32 v112, v44, v10
	s_delay_alu instid0(VALU_DEP_4) | instskip(SKIP_4) | instid1(VALU_DEP_4)
	v_fmac_f32_e32 v133, v101, v92
	v_dual_mul_f32 v125, v55, v26 :: v_dual_mul_f32 v114, v46, v12
	v_mul_f32_e32 v119, v49, v8
	v_fma_f32 v36, v37, v19, -v106
	v_mul_f32_e32 v108, v40, v14
	v_fmac_f32_e32 v125, v56, v25
	v_mul_f32_e32 v121, v51, v30
	v_fmac_f32_e32 v119, v50, v7
	v_mul_f32_e32 v107, v37, v20
	v_mul_f32_e32 v110, v42, v16
	s_delay_alu instid0(VALU_DEP_4)
	v_dual_mul_f32 v118, v50, v8 :: v_dual_fmac_f32 v121, v52, v29
	v_mul_f32_e32 v117, v47, v6
	v_mul_f32_e32 v126, v95, v28
	v_sub_f32_e32 v50, v34, v119
	v_mul_f32_e32 v120, v52, v30
	v_sub_f32_e32 v54, v105, v121
	v_fmac_f32_e32 v117, v48, v5
	v_fma_f32 v48, v98, v23, -v130
	v_mul_f32_e32 v113, v43, v10
	v_mul_f32_e32 v124, v56, v26
	v_fma_f32 v37, v39, v13, -v108
	v_fma_f32 v34, v34, 2.0, -v50
	s_delay_alu instid0(VALU_DEP_4)
	v_dual_mul_f32 v128, v97, v22 :: v_dual_fmac_f32 v113, v44, v9
	v_fma_f32 v44, v53, v31, -v122
	v_mul_f32_e32 v109, v39, v14
	v_fma_f32 v39, v43, v9, -v112
	v_fma_f32 v43, v51, v29, -v120
	v_fma_f32 v35, v35, v17, -v104
	v_sub_f32_e32 v44, v36, v44
	v_fmac_f32_e32 v109, v40, v13
	v_fma_f32 v40, v45, v11, -v114
	s_delay_alu instid0(VALU_DEP_4) | instskip(NEXT) | instid1(VALU_DEP_4)
	v_sub_f32_e32 v43, v35, v43
	v_fma_f32 v36, v36, 2.0, -v44
	s_delay_alu instid0(VALU_DEP_4) | instskip(NEXT) | instid1(VALU_DEP_4)
	v_sub_f32_e32 v56, v109, v125
	v_dual_sub_f32 v48, v40, v48 :: v_dual_fmac_f32 v107, v38, v19
	v_mul_f32_e32 v115, v45, v12
	v_fma_f32 v38, v41, v15, -v110
	v_fma_f32 v45, v55, v25, -v124
	s_delay_alu instid0(VALU_DEP_4)
	v_fma_f32 v40, v40, 2.0, -v48
	v_sub_f32_e32 v52, v107, v123
	v_fmac_f32_e32 v115, v46, v11
	v_fma_f32 v46, v94, v27, -v126
	v_mul_f32_e32 v111, v41, v16
	v_fma_f32 v41, v47, v5, -v116
	v_sub_f32_e32 v45, v37, v45
	v_mul_f32_e32 v127, v94, v28
	v_sub_f32_e32 v46, v38, v46
	v_dual_fmac_f32 v111, v42, v15 :: v_dual_sub_f32 v40, v36, v40
	v_fma_f32 v42, v49, v7, -v118
	v_fma_f32 v49, v100, v92, -v132
	v_sub_f32_e32 v94, v117, v133
	v_fma_f32 v38, v38, 2.0, -v46
	v_fma_f32 v37, v37, 2.0, -v45
	v_sub_f32_e32 v42, v33, v42
	v_sub_f32_e32 v49, v41, v49
	v_fma_f32 v101, v117, 2.0, -v94
	v_sub_f32_e32 v94, v45, v94
	v_fma_f32 v100, v109, 2.0, -v56
	v_fma_f32 v33, v33, 2.0, -v42
	;; [unrolled: 1-line block ×3, first 2 shown]
	v_add_f32_e32 v49, v56, v49
	v_fmac_f32_e32 v127, v95, v27
	s_delay_alu instid0(VALU_DEP_4) | instskip(SKIP_1) | instid1(VALU_DEP_3)
	v_dual_mul_f32 v131, v98, v24 :: v_dual_sub_f32 v38, v33, v38
	v_fma_f32 v45, v45, 2.0, -v94
	v_dual_add_f32 v46, v50, v46 :: v_dual_sub_f32 v51, v111, v127
	s_delay_alu instid0(VALU_DEP_3) | instskip(SKIP_1) | instid1(VALU_DEP_3)
	v_dual_fmac_f32 v131, v99, v23 :: v_dual_add_f32 v48, v52, v48
	v_fma_f32 v47, v96, v21, -v128
	v_fma_f32 v50, v50, 2.0, -v46
	s_delay_alu instid0(VALU_DEP_4)
	v_fma_f32 v95, v111, 2.0, -v51
	v_sub_f32_e32 v51, v42, v51
	v_mul_f32_e32 v129, v96, v22
	v_fma_f32 v96, v107, 2.0, -v52
	v_fma_f32 v52, v52, 2.0, -v48
	v_sub_f32_e32 v95, v34, v95
	v_fma_f32 v35, v35, 2.0, -v43
	v_fmac_f32_e32 v129, v97, v21
	s_delay_alu instid0(VALU_DEP_4) | instskip(NEXT) | instid1(VALU_DEP_4)
	v_dual_sub_f32 v41, v37, v41 :: v_dual_fmamk_f32 v110, v52, 0xbf3504f3, v50
	v_add_f32_e32 v111, v95, v40
	v_fma_f32 v109, v34, 2.0, -v95
	v_fma_f32 v42, v42, 2.0, -v51
	v_sub_f32_e32 v101, v100, v101
	v_fma_f32 v108, v33, 2.0, -v38
	v_fma_f32 v95, v95, 2.0, -v111
	v_sub_f32_e32 v53, v115, v131
	v_fma_f32 v33, v36, 2.0, -v40
	v_fma_f32 v36, v100, 2.0, -v101
	;; [unrolled: 1-line block ×3, first 2 shown]
	s_delay_alu instid0(VALU_DEP_4) | instskip(SKIP_1) | instid1(VALU_DEP_2)
	v_fma_f32 v97, v115, 2.0, -v53
	v_sub_f32_e32 v53, v44, v53
	v_sub_f32_e32 v97, v96, v97
	s_delay_alu instid0(VALU_DEP_2) | instskip(SKIP_1) | instid1(VALU_DEP_3)
	v_fma_f32 v44, v44, 2.0, -v53
	v_fmamk_f32 v104, v53, 0x3f3504f3, v51
	v_fma_f32 v34, v96, 2.0, -v97
	s_delay_alu instid0(VALU_DEP_3) | instskip(SKIP_1) | instid1(VALU_DEP_4)
	v_dual_fmac_f32 v110, 0x3f3504f3, v44 :: v_dual_sub_f32 v47, v39, v47
	v_fmamk_f32 v100, v44, 0xbf3504f3, v42
	v_dual_fmac_f32 v104, 0xbf3504f3, v48 :: v_dual_sub_f32 v97, v38, v97
	s_delay_alu instid0(VALU_DEP_3) | instskip(NEXT) | instid1(VALU_DEP_4)
	v_fma_f32 v116, v50, 2.0, -v110
	v_fma_f32 v39, v39, 2.0, -v47
	s_delay_alu instid0(VALU_DEP_4) | instskip(NEXT) | instid1(VALU_DEP_2)
	v_dual_add_f32 v47, v54, v47 :: v_dual_fmac_f32 v100, 0xbf3504f3, v52
	v_sub_f32_e32 v39, v35, v39
	s_delay_alu instid0(VALU_DEP_2) | instskip(NEXT) | instid1(VALU_DEP_2)
	v_fmamk_f32 v107, v49, 0x3f3504f3, v47
	v_fma_f32 v96, v35, 2.0, -v39
	v_fma_f32 v35, v37, 2.0, -v41
	s_delay_alu instid0(VALU_DEP_1) | instskip(SKIP_1) | instid1(VALU_DEP_1)
	v_dual_fmac_f32 v107, 0x3f3504f3, v94 :: v_dual_sub_f32 v44, v96, v35
	v_sub_f32_e32 v55, v113, v129
	v_fma_f32 v99, v113, 2.0, -v55
	v_sub_f32_e32 v55, v43, v55
	v_fma_f32 v113, v38, 2.0, -v97
	s_delay_alu instid0(VALU_DEP_2)
	v_fmamk_f32 v106, v94, 0x3f3504f3, v55
	v_sub_f32_e32 v94, v109, v34
	v_fma_f32 v98, v105, 2.0, -v54
	v_fma_f32 v54, v54, 2.0, -v47
	;; [unrolled: 1-line block ×3, first 2 shown]
	v_dual_fmamk_f32 v105, v48, 0x3f3504f3, v46 :: v_dual_sub_f32 v48, v39, v101
	s_delay_alu instid0(VALU_DEP_3) | instskip(SKIP_1) | instid1(VALU_DEP_3)
	v_dual_sub_f32 v99, v98, v99 :: v_dual_fmamk_f32 v112, v56, 0xbf3504f3, v54
	v_fmac_f32_e32 v106, 0xbf3504f3, v49
	v_fmac_f32_e32 v105, 0x3f3504f3, v53
	v_fmamk_f32 v53, v45, 0xbf3504f3, v43
	s_delay_alu instid0(VALU_DEP_4)
	v_fma_f32 v98, v98, 2.0, -v99
	v_add_f32_e32 v101, v99, v41
	v_sub_f32_e32 v49, v108, v33
	v_fmac_f32_e32 v112, 0x3f3504f3, v45
	v_fma_f32 v115, v46, 2.0, -v105
	v_sub_f32_e32 v41, v98, v36
	v_fmac_f32_e32 v53, 0xbf3504f3, v56
	v_fma_f32 v52, v99, 2.0, -v101
	v_fmamk_f32 v34, v101, 0x3f3504f3, v111
	v_fma_f32 v99, v108, 2.0, -v49
	v_fma_f32 v108, v109, 2.0, -v94
	;; [unrolled: 1-line block ×6, first 2 shown]
	v_add_f32_e32 v42, v94, v44
	v_fmamk_f32 v44, v112, 0x3ec3ef15, v110
	v_fmamk_f32 v33, v48, 0x3f3504f3, v97
	v_fma_f32 v96, v43, 2.0, -v53
	v_fmac_f32_e32 v34, 0x3f3504f3, v48
	v_fma_f32 v56, v47, 2.0, -v107
	v_fmac_f32_e32 v44, 0x3f6c835e, v53
	v_fma_f32 v114, v51, 2.0, -v104
	v_fma_f32 v51, v39, 2.0, -v48
	v_fmamk_f32 v48, v98, 0xbf6c835e, v116
	v_dual_fmamk_f32 v35, v106, 0x3f6c835e, v104 :: v_dual_fmamk_f32 v36, v107, 0x3f6c835e, v105
	v_fmamk_f32 v38, v52, 0xbf3504f3, v95
	v_fmamk_f32 v43, v53, 0x3ec3ef15, v100
	s_delay_alu instid0(VALU_DEP_4)
	v_fmac_f32_e32 v48, 0x3ec3ef15, v96
	v_fma_f32 v55, v55, 2.0, -v106
	v_fmamk_f32 v37, v51, 0xbf3504f3, v113
	v_fmamk_f32 v40, v56, 0xbec3ef15, v115
	;; [unrolled: 1-line block ×3, first 2 shown]
	v_fmac_f32_e32 v33, 0xbf3504f3, v101
	v_fmamk_f32 v39, v55, 0xbec3ef15, v114
	v_fmac_f32_e32 v35, 0xbec3ef15, v107
	v_dual_fmac_f32 v36, 0x3ec3ef15, v106 :: v_dual_sub_f32 v41, v49, v41
	v_fmac_f32_e32 v38, 0x3f3504f3, v51
	v_fmac_f32_e32 v43, 0xbf6c835e, v112
	;; [unrolled: 1-line block ×4, first 2 shown]
	v_dual_fmac_f32 v40, 0x3f6c835e, v55 :: v_dual_sub_f32 v45, v99, v45
	v_sub_f32_e32 v46, v108, v46
	v_fmac_f32_e32 v47, 0xbec3ef15, v98
	v_fma_f32 v51, v97, 2.0, -v33
	v_fma_f32 v52, v111, 2.0, -v34
	;; [unrolled: 1-line block ×6, first 2 shown]
	ds_store_2addr_stride64_b64 v144, v[33:34], v[35:36] offset0:14 offset1:15
	v_fma_f32 v36, v95, 2.0, -v38
	v_fma_f32 v94, v100, 2.0, -v43
	;; [unrolled: 1-line block ×8, first 2 shown]
	ds_store_2addr_stride64_b64 v144, v[41:42], v[43:44] offset0:12 offset1:13
	ds_store_2addr_stride64_b64 v144, v[51:52], v[53:54] offset0:6 offset1:7
	v_fma_f32 v41, v109, 2.0, -v47
	v_fma_f32 v42, v116, 2.0, -v48
	ds_store_2addr_stride64_b64 v144, v[37:38], v[39:40] offset0:10 offset1:11
	ds_store_2addr_stride64_b64 v144, v[49:50], v[94:95] offset0:4 offset1:5
	;; [unrolled: 1-line block ×4, first 2 shown]
	ds_store_2addr_stride64_b64 v144, v[33:34], v[41:42] offset1:1
	global_wb scope:SCOPE_SE
	s_wait_dscnt 0x0
	s_barrier_signal -1
	s_barrier_wait -1
	global_inv scope:SCOPE_SE
	s_clause 0x7
	global_load_b128 v[41:44], v[102:103], off offset:8064
	global_load_b128 v[37:40], v[102:103], off offset:8080
	;; [unrolled: 1-line block ×3, first 2 shown]
	global_load_b64 v[94:95], v[102:103], off offset:8112
	global_load_b128 v[53:56], v[102:103], off offset:36736
	global_load_b128 v[49:52], v[102:103], off offset:36752
	;; [unrolled: 1-line block ×3, first 2 shown]
	global_load_b64 v[96:97], v[102:103], off offset:36784
	ds_load_2addr_stride64_b64 v[98:101], v138 offset0:16 offset1:24
	ds_load_2addr_stride64_b64 v[102:105], v138 offset0:32 offset1:40
	;; [unrolled: 1-line block ×7, first 2 shown]
	ds_load_2addr_stride64_b64 v[126:129], v138 offset1:8
	s_wait_loadcnt_dscnt 0x707
	v_mul_f32_e32 v130, v99, v42
	s_wait_loadcnt_dscnt 0x604
	v_mul_f32_e32 v136, v111, v40
	;; [unrolled: 2-line block ×3, first 2 shown]
	v_mul_f32_e32 v132, v103, v44
	s_wait_loadcnt 0x3
	v_mul_f32_e32 v154, v104, v56
	s_wait_loadcnt 0x2
	;; [unrolled: 2-line block ×3, first 2 shown]
	v_mul_f32_e32 v162, v120, v48
	v_dual_mul_f32 v153, v105, v56 :: v_dual_mul_f32 v160, v116, v46
	v_fmac_f32_e32 v154, v105, v55
	v_fma_f32 v105, v112, v51, -v157
	s_delay_alu instid0(VALU_DEP_4)
	v_fmac_f32_e32 v162, v121, v47
	v_mul_f32_e32 v152, v100, v54
	v_mul_f32_e32 v159, v117, v46
	v_fmac_f32_e32 v160, v117, v45
	s_wait_dscnt 0x0
	v_sub_f32_e32 v105, v128, v105
	v_sub_f32_e32 v117, v154, v162
	v_mul_f32_e32 v133, v102, v44
	v_mul_f32_e32 v158, v112, v52
	v_fmac_f32_e32 v148, v119, v35
	v_dual_fmac_f32 v152, v101, v53 :: v_dual_mul_f32 v131, v98, v42
	v_fma_f32 v98, v98, v41, -v130
	v_dual_sub_f32 v130, v105, v117 :: v_dual_fmac_f32 v133, v103, v43
	v_fma_f32 v103, v110, v39, -v136
	s_wait_loadcnt 0x0
	v_mul_f32_e32 v164, v124, v97
	v_dual_fmac_f32 v158, v113, v51 :: v_dual_mul_f32 v147, v119, v36
	v_sub_f32_e32 v113, v133, v148
	v_sub_f32_e32 v103, v126, v103
	v_mul_f32_e32 v163, v125, v97
	v_fmac_f32_e32 v164, v125, v96
	v_dual_mul_f32 v134, v107, v38 :: v_dual_mul_f32 v137, v110, v40
	s_delay_alu instid0(VALU_DEP_4) | instskip(SKIP_2) | instid1(VALU_DEP_4)
	v_sub_f32_e32 v125, v103, v113
	v_mul_f32_e32 v135, v106, v38
	v_mul_f32_e32 v155, v109, v50
	v_dual_mul_f32 v156, v108, v50 :: v_dual_fmac_f32 v137, v111, v39
	v_fma_f32 v111, v124, v96, -v163
	s_delay_alu instid0(VALU_DEP_4)
	v_fmac_f32_e32 v135, v107, v37
	v_fma_f32 v107, v118, v35, -v147
	v_dual_sub_f32 v118, v152, v160 :: v_dual_fmac_f32 v131, v99, v41
	v_fma_f32 v99, v102, v43, -v132
	v_fma_f32 v132, v103, 2.0, -v125
	v_mul_f32_e32 v151, v101, v54
	v_fma_f32 v101, v104, v55, -v153
	v_fma_f32 v104, v108, v49, -v155
	v_fmac_f32_e32 v156, v109, v49
	v_fma_f32 v108, v116, v45, -v159
	v_fma_f32 v100, v100, v53, -v151
	v_dual_sub_f32 v112, v127, v137 :: v_dual_mul_f32 v161, v121, v48
	s_delay_alu instid0(VALU_DEP_4) | instskip(SKIP_1) | instid1(VALU_DEP_4)
	v_sub_f32_e32 v119, v156, v164
	v_sub_f32_e32 v111, v104, v111
	;; [unrolled: 1-line block ×3, first 2 shown]
	s_delay_alu instid0(VALU_DEP_4)
	v_fma_f32 v121, v127, 2.0, -v112
	v_fma_f32 v127, v154, 2.0, -v117
	v_mul_f32_e32 v146, v114, v34
	v_mul_f32_e32 v150, v122, v95
	v_sub_f32_e32 v117, v108, v119
	v_mul_f32_e32 v149, v123, v95
	v_fma_f32 v102, v106, v37, -v134
	v_fmac_f32_e32 v146, v115, v33
	v_fmac_f32_e32 v150, v123, v94
	v_fma_f32 v109, v120, v47, -v161
	v_fma_f32 v110, v122, v94, -v149
	v_fma_f32 v122, v133, 2.0, -v113
	v_fma_f32 v113, v128, 2.0, -v105
	;; [unrolled: 1-line block ×4, first 2 shown]
	v_mul_f32_e32 v145, v115, v34
	v_dual_sub_f32 v107, v99, v107 :: v_dual_sub_f32 v110, v102, v110
	v_sub_f32_e32 v115, v135, v150
	v_sub_f32_e32 v116, v129, v158
	s_delay_alu instid0(VALU_DEP_4) | instskip(SKIP_3) | instid1(VALU_DEP_4)
	v_fma_f32 v106, v114, v33, -v145
	v_dual_sub_f32 v114, v131, v146 :: v_dual_sub_f32 v109, v101, v109
	v_fma_f32 v120, v126, 2.0, -v103
	v_fma_f32 v99, v99, 2.0, -v107
	v_sub_f32_e32 v106, v98, v106
	s_delay_alu instid0(VALU_DEP_4)
	v_fma_f32 v124, v131, 2.0, -v114
	v_add_f32_e32 v126, v112, v107
	v_fma_f32 v101, v101, 2.0, -v109
	v_fma_f32 v104, v156, 2.0, -v119
	;; [unrolled: 1-line block ×5, first 2 shown]
	v_sub_f32_e32 v107, v106, v115
	v_add_f32_e32 v110, v114, v110
	v_fma_f32 v115, v129, 2.0, -v116
	v_fma_f32 v129, v152, 2.0, -v118
	v_add_f32_e32 v131, v116, v109
	v_add_f32_e32 v111, v118, v111
	v_dual_sub_f32 v119, v120, v99 :: v_dual_sub_f32 v122, v121, v122
	v_fma_f32 v133, v112, 2.0, -v126
	v_sub_f32_e32 v109, v123, v98
	v_sub_f32_e32 v112, v124, v102
	v_fma_f32 v134, v106, 2.0, -v107
	v_fma_f32 v114, v114, 2.0, -v110
	v_fmamk_f32 v99, v110, 0x3f3504f3, v126
	v_sub_f32_e32 v135, v113, v101
	v_sub_f32_e32 v127, v115, v127
	v_fma_f32 v136, v105, 2.0, -v130
	v_fma_f32 v137, v116, 2.0, -v131
	v_sub_f32_e32 v116, v128, v100
	v_sub_f32_e32 v145, v129, v104
	v_fma_f32 v146, v108, 2.0, -v117
	v_fma_f32 v118, v118, 2.0, -v111
	v_fmamk_f32 v98, v107, 0x3f3504f3, v125
	v_dual_fmamk_f32 v100, v117, 0x3f3504f3, v130 :: v_dual_fmamk_f32 v101, v111, 0x3f3504f3, v131
	v_fma_f32 v147, v120, 2.0, -v119
	v_fma_f32 v148, v121, 2.0, -v122
	;; [unrolled: 1-line block ×4, first 2 shown]
	v_fmamk_f32 v102, v134, 0xbf3504f3, v132
	v_fmamk_f32 v103, v114, 0xbf3504f3, v133
	v_fmac_f32_e32 v99, 0x3f3504f3, v107
	v_fma_f32 v123, v113, 2.0, -v135
	v_fma_f32 v124, v115, 2.0, -v127
	;; [unrolled: 1-line block ×4, first 2 shown]
	v_fmamk_f32 v106, v146, 0xbf3504f3, v136
	v_dual_fmamk_f32 v107, v118, 0xbf3504f3, v137 :: v_dual_sub_f32 v104, v119, v112
	v_add_f32_e32 v105, v122, v109
	v_sub_f32_e32 v108, v135, v145
	v_dual_add_f32 v109, v127, v116 :: v_dual_fmac_f32 v98, 0xbf3504f3, v110
	v_fmac_f32_e32 v100, 0xbf3504f3, v111
	v_dual_fmac_f32 v101, 0x3f3504f3, v117 :: v_dual_sub_f32 v110, v147, v120
	v_dual_sub_f32 v111, v148, v121 :: v_dual_fmac_f32 v102, 0xbf3504f3, v114
	v_dual_fmac_f32 v103, 0x3f3504f3, v134 :: v_dual_sub_f32 v116, v123, v128
	v_dual_sub_f32 v117, v124, v129 :: v_dual_fmac_f32 v106, 0xbf3504f3, v118
	v_fmac_f32_e32 v107, 0x3f3504f3, v146
	v_fma_f32 v112, v119, 2.0, -v104
	v_fma_f32 v113, v122, 2.0, -v105
	;; [unrolled: 1-line block ×8, first 2 shown]
	ds_store_2addr_stride64_b64 v138, v[104:105], v[108:109] offset0:96 offset1:104
	ds_store_2addr_stride64_b64 v138, v[98:99], v[100:101] offset0:112 offset1:120
	v_fma_f32 v98, v147, 2.0, -v110
	v_fma_f32 v99, v148, 2.0, -v111
	;; [unrolled: 1-line block ×8, first 2 shown]
	ds_store_2addr_stride64_b64 v138, v[112:113], v[118:119] offset0:32 offset1:40
	ds_store_2addr_stride64_b64 v138, v[114:115], v[120:121] offset0:48 offset1:56
	;; [unrolled: 1-line block ×4, first 2 shown]
	ds_store_2addr_stride64_b64 v138, v[98:99], v[104:105] offset1:8
	ds_store_2addr_stride64_b64 v138, v[100:101], v[108:109] offset0:16 offset1:24
	global_wb scope:SCOPE_SE
	s_wait_dscnt 0x0
	s_barrier_signal -1
	s_barrier_wait -1
	global_inv scope:SCOPE_SE
	s_clause 0xf
	global_load_b64 v[98:99], v138, s[8:9] offset:65536
	global_load_b64 v[100:101], v138, s[2:3] offset:4096
	global_load_b64 v[102:103], v138, s[2:3] offset:8192
	global_load_b64 v[104:105], v138, s[2:3] offset:12288
	global_load_b64 v[106:107], v138, s[2:3] offset:16384
	global_load_b64 v[108:109], v138, s[2:3] offset:20480
	global_load_b64 v[110:111], v138, s[2:3] offset:24576
	global_load_b64 v[112:113], v138, s[2:3] offset:28672
	global_load_b64 v[114:115], v138, s[2:3] offset:32768
	global_load_b64 v[116:117], v138, s[2:3] offset:36864
	global_load_b64 v[118:119], v138, s[2:3] offset:40960
	global_load_b64 v[120:121], v138, s[2:3] offset:45056
	global_load_b64 v[122:123], v138, s[2:3] offset:49152
	global_load_b64 v[124:125], v138, s[2:3] offset:53248
	global_load_b64 v[130:131], v138, s[2:3] offset:57344
	global_load_b64 v[132:133], v138, s[2:3] offset:61440
	v_mad_co_u64_u32 v[126:127], null, s6, v89, 0
	v_mad_co_u64_u32 v[128:129], null, s4, v0, 0
	ds_load_2addr_stride64_b64 v[145:148], v138 offset1:8
	ds_load_2addr_stride64_b64 v[149:152], v138 offset0:16 offset1:24
	ds_load_2addr_stride64_b64 v[153:156], v138 offset0:32 offset1:40
	ds_load_2addr_stride64_b64 v[157:160], v138 offset0:48 offset1:56
	ds_load_2addr_stride64_b64 v[161:164], v138 offset0:64 offset1:72
	ds_load_2addr_stride64_b64 v[165:168], v138 offset0:80 offset1:88
	ds_load_2addr_stride64_b64 v[169:172], v138 offset0:96 offset1:104
	ds_load_2addr_stride64_b64 v[173:176], v138 offset0:112 offset1:120
	v_mad_co_u64_u32 v[134:135], null, s7, v89, v[127:128]
	s_delay_alu instid0(VALU_DEP_1) | instskip(NEXT) | instid1(VALU_DEP_1)
	v_mov_b32_e32 v127, v134
	v_lshlrev_b64_e32 v[126:127], 3, v[126:127]
	s_wait_loadcnt 0x1
	v_mad_co_u64_u32 v[135:136], null, s5, v0, v[129:130]
	s_delay_alu instid0(VALU_DEP_2) | instskip(SKIP_1) | instid1(VALU_DEP_3)
	v_add_co_u32 v0, vcc_lo, s0, v126
	s_wait_alu 0xfffd
	v_add_co_ci_u32_e32 v89, vcc_lo, s1, v127, vcc_lo
	s_wait_dscnt 0x7
	v_mul_f32_e32 v178, v145, v99
	s_lshl_b64 s[0:1], s[4:5], 12
	s_delay_alu instid0(VALU_DEP_1) | instskip(NEXT) | instid1(VALU_DEP_1)
	v_dual_mov_b32 v129, v135 :: v_dual_fmac_f32 v178, v146, v98
	v_lshlrev_b64_e32 v[128:129], 3, v[128:129]
	s_delay_alu instid0(VALU_DEP_1) | instskip(SKIP_1) | instid1(VALU_DEP_2)
	v_add_co_u32 v126, vcc_lo, v0, v128
	s_wait_alu 0xfffd
	v_add_co_ci_u32_e32 v127, vcc_lo, v89, v129, vcc_lo
	v_dual_mul_f32 v0, v146, v99 :: v_dual_mul_f32 v89, v148, v101
	v_mul_f32_e32 v99, v147, v101
	s_wait_dscnt 0x5
	v_dual_mul_f32 v101, v149, v103 :: v_dual_mul_f32 v146, v156, v109
	s_delay_alu instid0(VALU_DEP_3)
	v_fma_f32 v177, v145, v98, -v0
	v_mul_f32_e32 v0, v150, v103
	v_fma_f32 v98, v147, v100, -v89
	v_mul_f32_e32 v89, v152, v105
	v_fmac_f32_e32 v99, v148, v100
	v_mul_f32_e32 v103, v151, v105
	v_mul_f32_e32 v145, v154, v107
	;; [unrolled: 1-line block ×3, first 2 shown]
	v_fma_f32 v100, v149, v102, -v0
	v_fmac_f32_e32 v101, v150, v102
	s_wait_dscnt 0x4
	v_dual_mul_f32 v107, v155, v109 :: v_dual_mul_f32 v0, v158, v111
	v_fma_f32 v102, v151, v104, -v89
	v_mul_f32_e32 v109, v157, v111
	v_mul_f32_e32 v89, v160, v113
	;; [unrolled: 1-line block ×3, first 2 shown]
	v_fmac_f32_e32 v103, v152, v104
	s_wait_dscnt 0x3
	v_mul_f32_e32 v147, v162, v115
	v_fma_f32 v104, v153, v106, -v145
	v_mul_f32_e32 v113, v161, v115
	v_fmac_f32_e32 v105, v154, v106
	v_mul_f32_e32 v145, v164, v117
	v_fma_f32 v106, v155, v108, -v146
	v_mul_f32_e32 v115, v163, v117
	s_wait_dscnt 0x2
	v_dual_fmac_f32 v107, v156, v108 :: v_dual_mul_f32 v146, v166, v119
	v_dual_mul_f32 v117, v165, v119 :: v_dual_mul_f32 v148, v168, v121
	v_mul_f32_e32 v119, v167, v121
	v_fma_f32 v108, v157, v110, -v0
	s_wait_dscnt 0x1
	v_mul_f32_e32 v0, v170, v123
	v_fmac_f32_e32 v109, v158, v110
	v_mul_f32_e32 v121, v169, v123
	v_fma_f32 v110, v159, v112, -v89
	v_mul_f32_e32 v89, v172, v125
	v_mul_f32_e32 v123, v171, v125
	s_wait_dscnt 0x0
	v_mul_f32_e32 v149, v174, v131
	s_wait_loadcnt 0x0
	v_dual_mul_f32 v125, v173, v131 :: v_dual_mul_f32 v150, v176, v133
	v_mul_f32_e32 v131, v175, v133
	v_fmac_f32_e32 v111, v160, v112
	v_fma_f32 v112, v161, v114, -v147
	v_fmac_f32_e32 v113, v162, v114
	v_fma_f32 v114, v163, v116, -v145
	;; [unrolled: 2-line block ×8, first 2 shown]
	v_fmac_f32_e32 v131, v176, v132
	ds_store_2addr_stride64_b64 v138, v[177:178], v[98:99] offset1:8
	ds_store_2addr_stride64_b64 v138, v[100:101], v[102:103] offset0:16 offset1:24
	ds_store_2addr_stride64_b64 v138, v[104:105], v[106:107] offset0:32 offset1:40
	;; [unrolled: 1-line block ×7, first 2 shown]
	global_wb scope:SCOPE_SE
	s_wait_dscnt 0x0
	s_barrier_signal -1
	s_barrier_wait -1
	global_inv scope:SCOPE_SE
	ds_load_2addr_stride64_b64 v[102:105], v138 offset1:8
	ds_load_2addr_stride64_b64 v[106:109], v138 offset0:64 offset1:72
	ds_load_2addr_stride64_b64 v[110:113], v138 offset0:32 offset1:40
	;; [unrolled: 1-line block ×7, first 2 shown]
	global_wb scope:SCOPE_SE
	s_wait_dscnt 0x0
	s_barrier_signal -1
	s_barrier_wait -1
	global_inv scope:SCOPE_SE
	s_wait_alu 0xfffe
	v_add_co_u32 v128, vcc_lo, v126, s0
	s_wait_alu 0xfffd
	v_add_co_ci_u32_e32 v129, vcc_lo, s1, v127, vcc_lo
	s_delay_alu instid0(VALU_DEP_2) | instskip(SKIP_1) | instid1(VALU_DEP_2)
	v_add_co_u32 v134, vcc_lo, v128, s0
	s_wait_alu 0xfffd
	v_add_co_ci_u32_e32 v135, vcc_lo, s1, v129, vcc_lo
	v_dual_sub_f32 v0, v102, v106 :: v_dual_sub_f32 v89, v103, v107
	v_dual_sub_f32 v106, v110, v114 :: v_dual_sub_f32 v107, v111, v115
	;; [unrolled: 1-line block ×8, first 2 shown]
	v_fma_f32 v102, v102, 2.0, -v0
	v_fma_f32 v103, v103, 2.0, -v89
	;; [unrolled: 1-line block ×16, first 2 shown]
	v_dual_add_f32 v107, v0, v107 :: v_dual_sub_f32 v106, v89, v106
	v_dual_add_f32 v123, v114, v123 :: v_dual_sub_f32 v122, v115, v122
	;; [unrolled: 1-line block ×4, first 2 shown]
	v_dual_sub_f32 v110, v102, v110 :: v_dual_sub_f32 v111, v103, v111
	v_fma_f32 v0, v0, 2.0, -v107
	v_fma_f32 v89, v89, 2.0, -v106
	v_dual_sub_f32 v130, v118, v130 :: v_dual_sub_f32 v131, v119, v131
	v_fma_f32 v114, v114, 2.0, -v123
	v_fma_f32 v115, v115, 2.0, -v122
	;; [unrolled: 3-line block ×4, first 2 shown]
	v_dual_fmamk_f32 v147, v123, 0x3f3504f3, v107 :: v_dual_fmamk_f32 v148, v122, 0x3f3504f3, v106
	v_dual_fmamk_f32 v149, v146, 0x3f3504f3, v117 :: v_dual_fmamk_f32 v150, v145, 0x3f3504f3, v116
	v_fma_f32 v151, v102, 2.0, -v110
	v_fma_f32 v152, v103, 2.0, -v111
	;; [unrolled: 1-line block ×8, first 2 shown]
	v_dual_fmamk_f32 v120, v114, 0xbf3504f3, v0 :: v_dual_fmamk_f32 v121, v115, 0xbf3504f3, v89
	v_fmac_f32_e32 v147, 0x3f3504f3, v122
	v_fmac_f32_e32 v148, 0xbf3504f3, v123
	v_dual_fmamk_f32 v122, v124, 0xbf3504f3, v108 :: v_dual_fmamk_f32 v123, v125, 0xbf3504f3, v109
	v_dual_add_f32 v131, v110, v131 :: v_dual_sub_f32 v130, v111, v130
	v_dual_add_f32 v133, v112, v133 :: v_dual_sub_f32 v132, v113, v132
	v_fmac_f32_e32 v149, 0x3f3504f3, v145
	v_fmac_f32_e32 v150, 0xbf3504f3, v146
	;; [unrolled: 1-line block ×6, first 2 shown]
	v_fma_f32 v153, v110, 2.0, -v131
	v_fma_f32 v154, v111, 2.0, -v130
	;; [unrolled: 1-line block ×8, first 2 shown]
	v_dual_sub_f32 v145, v151, v102 :: v_dual_sub_f32 v146, v152, v103
	v_dual_sub_f32 v111, v118, v104 :: v_dual_sub_f32 v110, v119, v105
	v_fma_f32 v0, v0, 2.0, -v120
	v_fma_f32 v89, v89, 2.0, -v121
	;; [unrolled: 1-line block ×4, first 2 shown]
	v_dual_fmamk_f32 v102, v133, 0x3f3504f3, v131 :: v_dual_fmamk_f32 v103, v132, 0x3f3504f3, v130
	v_dual_fmamk_f32 v104, v149, 0x3f6c835e, v147 :: v_dual_fmamk_f32 v105, v150, 0x3f6c835e, v148
	;; [unrolled: 1-line block ×5, first 2 shown]
	v_fma_f32 v151, v151, 2.0, -v145
	v_fma_f32 v152, v152, 2.0, -v146
	;; [unrolled: 1-line block ×4, first 2 shown]
	v_dual_fmamk_f32 v116, v159, 0xbf6c835e, v0 :: v_dual_fmamk_f32 v117, v160, 0xbf6c835e, v89
	v_dual_add_f32 v110, v145, v110 :: v_dual_sub_f32 v111, v146, v111
	v_fmac_f32_e32 v102, 0x3f3504f3, v132
	v_fmac_f32_e32 v103, 0xbf3504f3, v133
	;; [unrolled: 1-line block ×9, first 2 shown]
	v_dual_fmac_f32 v109, 0xbf6c835e, v157 :: v_dual_sub_f32 v114, v151, v114
	v_dual_sub_f32 v115, v152, v115 :: v_dual_fmac_f32 v116, 0x3ec3ef15, v160
	v_fmac_f32_e32 v117, 0xbec3ef15, v159
	v_fma_f32 v118, v145, 2.0, -v110
	v_fma_f32 v119, v146, 2.0, -v111
	;; [unrolled: 1-line block ×12, first 2 shown]
	ds_store_b128 v139, v[102:105] offset:112
	v_fma_f32 v102, v151, 2.0, -v114
	v_fma_f32 v103, v152, 2.0, -v115
	;; [unrolled: 1-line block ×4, first 2 shown]
	ds_store_b128 v139, v[110:113] offset:96
	ds_store_b128 v139, v[122:125] offset:48
	;; [unrolled: 1-line block ×6, first 2 shown]
	ds_store_b128 v139, v[102:105]
	global_wb scope:SCOPE_SE
	s_wait_dscnt 0x0
	s_barrier_signal -1
	s_barrier_wait -1
	global_inv scope:SCOPE_SE
	ds_load_2addr_stride64_b64 v[106:109], v138 offset0:32 offset1:40
	ds_load_2addr_stride64_b64 v[110:113], v138 offset0:64 offset1:72
	;; [unrolled: 1-line block ×3, first 2 shown]
	ds_load_2addr_stride64_b64 v[118:121], v138 offset1:8
	ds_load_2addr_stride64_b64 v[122:125], v138 offset0:48 offset1:56
	ds_load_2addr_stride64_b64 v[130:133], v138 offset0:16 offset1:24
	ds_load_2addr_stride64_b64 v[145:148], v138 offset0:80 offset1:88
	ds_load_2addr_stride64_b64 v[149:152], v138 offset0:112 offset1:120
	global_wb scope:SCOPE_SE
	s_wait_dscnt 0x0
	s_barrier_signal -1
	s_barrier_wait -1
	global_inv scope:SCOPE_SE
	v_add_co_u32 v136, vcc_lo, v134, s0
	s_wait_alu 0xfffd
	v_add_co_ci_u32_e32 v137, vcc_lo, s1, v135, vcc_lo
	s_delay_alu instid0(VALU_DEP_2) | instskip(SKIP_1) | instid1(VALU_DEP_2)
	v_add_co_u32 v98, vcc_lo, v136, s0
	s_wait_alu 0xfffd
	v_add_co_ci_u32_e32 v99, vcc_lo, s1, v137, vcc_lo
	s_delay_alu instid0(VALU_DEP_2)
	v_add_co_u32 v100, vcc_lo, v98, s0
	v_mul_f32_e32 v162, v2, v123
	v_mul_f32_e32 v0, v2, v107
	;; [unrolled: 1-line block ×4, first 2 shown]
	v_dual_mul_f32 v153, v4, v110 :: v_dual_mul_f32 v154, v91, v115
	v_dual_mul_f32 v155, v91, v114 :: v_dual_mul_f32 v156, v2, v109
	;; [unrolled: 1-line block ×4, first 2 shown]
	v_mul_f32_e32 v161, v91, v116
	v_mul_f32_e32 v163, v2, v122
	;; [unrolled: 1-line block ×3, first 2 shown]
	v_dual_mul_f32 v165, v4, v145 :: v_dual_mul_f32 v166, v91, v150
	v_mul_f32_e32 v167, v91, v149
	v_mul_f32_e32 v168, v2, v125
	;; [unrolled: 1-line block ×6, first 2 shown]
	v_dual_mul_f32 v91, v91, v151 :: v_dual_fmac_f32 v0, v1, v106
	v_fma_f32 v89, v1, v107, -v89
	v_fmac_f32_e32 v139, v3, v110
	v_fma_f32 v106, v3, v111, -v153
	v_fmac_f32_e32 v154, v90, v114
	;; [unrolled: 2-line block ×11, first 2 shown]
	v_fma_f32 v2, v90, v152, -v91
	v_dual_sub_f32 v4, v118, v139 :: v_dual_sub_f32 v91, v119, v106
	v_dual_sub_f32 v3, v0, v154 :: v_dual_sub_f32 v90, v89, v107
	v_dual_sub_f32 v115, v120, v158 :: v_dual_sub_f32 v116, v121, v109
	v_sub_f32_e32 v106, v156, v160
	v_dual_sub_f32 v107, v108, v110 :: v_dual_sub_f32 v122, v130, v164
	v_sub_f32_e32 v123, v131, v112
	v_dual_sub_f32 v109, v162, v166 :: v_dual_sub_f32 v110, v111, v113
	;; [unrolled: 2-line block ×3, first 2 shown]
	v_sub_f32_e32 v113, v114, v2
	v_fma_f32 v139, v118, 2.0, -v4
	v_fma_f32 v145, v119, 2.0, -v91
	;; [unrolled: 1-line block ×4, first 2 shown]
	v_sub_f32_e32 v1, v91, v3
	v_fma_f32 v146, v120, 2.0, -v115
	v_fma_f32 v147, v121, 2.0, -v116
	;; [unrolled: 1-line block ×4, first 2 shown]
	v_dual_add_f32 v2, v115, v107 :: v_dual_sub_f32 v3, v116, v106
	v_fma_f32 v148, v130, 2.0, -v122
	v_fma_f32 v149, v131, 2.0, -v123
	;; [unrolled: 1-line block ×8, first 2 shown]
	v_add_f32_e32 v0, v4, v90
	v_dual_add_f32 v89, v122, v110 :: v_dual_sub_f32 v90, v123, v109
	v_dual_add_f32 v106, v124, v113 :: v_dual_sub_f32 v107, v125, v112
	v_dual_sub_f32 v108, v139, v117 :: v_dual_sub_f32 v109, v145, v118
	v_dual_sub_f32 v112, v146, v119 :: v_dual_sub_f32 v113, v147, v120
	v_fma_f32 v114, v115, 2.0, -v2
	v_fma_f32 v115, v116, 2.0, -v3
	v_dual_sub_f32 v116, v148, v121 :: v_dual_sub_f32 v117, v149, v130
	v_dual_sub_f32 v120, v150, v131 :: v_dual_sub_f32 v121, v151, v132
	v_fma_f32 v110, v4, 2.0, -v0
	v_fma_f32 v111, v91, 2.0, -v1
	;; [unrolled: 1-line block ×14, first 2 shown]
	ds_store_2addr_b64 v140, v[108:109], v[0:1] offset0:32 offset1:48
	ds_store_2addr_b64 v141, v[112:113], v[2:3] offset0:32 offset1:48
	;; [unrolled: 1-line block ×4, first 2 shown]
	ds_store_2addr_b64 v140, v[124:125], v[110:111] offset1:16
	ds_store_2addr_b64 v141, v[130:131], v[114:115] offset1:16
	;; [unrolled: 1-line block ×4, first 2 shown]
	global_wb scope:SCOPE_SE
	s_wait_dscnt 0x0
	s_barrier_signal -1
	s_barrier_wait -1
	global_inv scope:SCOPE_SE
	ds_load_2addr_stride64_b64 v[106:109], v138 offset1:8
	ds_load_2addr_stride64_b64 v[110:113], v138 offset0:16 offset1:24
	ds_load_2addr_stride64_b64 v[114:117], v138 offset0:32 offset1:40
	;; [unrolled: 1-line block ×7, first 2 shown]
	global_wb scope:SCOPE_SE
	s_wait_dscnt 0x0
	s_barrier_signal -1
	s_barrier_wait -1
	global_inv scope:SCOPE_SE
	s_wait_alu 0xfffd
	v_add_co_ci_u32_e32 v101, vcc_lo, s1, v99, vcc_lo
	v_add_co_u32 v102, vcc_lo, v100, s0
	s_wait_alu 0xfffd
	s_delay_alu instid0(VALU_DEP_2) | instskip(NEXT) | instid1(VALU_DEP_2)
	v_add_co_ci_u32_e32 v103, vcc_lo, s1, v101, vcc_lo
	v_add_co_u32 v104, vcc_lo, v102, s0
	s_wait_alu 0xfffd
	s_delay_alu instid0(VALU_DEP_2)
	v_add_co_ci_u32_e32 v105, vcc_lo, s1, v103, vcc_lo
	v_mul_f32_e32 v4, v18, v109
	v_dual_mul_f32 v18, v18, v108 :: v_dual_mul_f32 v89, v20, v111
	v_mul_f32_e32 v20, v20, v110
	v_mul_f32_e32 v90, v14, v113
	v_dual_mul_f32 v14, v14, v112 :: v_dual_mul_f32 v91, v16, v115
	v_dual_mul_f32 v16, v16, v114 :: v_dual_mul_f32 v143, v10, v117
	;; [unrolled: 1-line block ×3, first 2 shown]
	v_mul_f32_e32 v12, v12, v118
	v_mul_f32_e32 v150, v6, v121
	v_dual_mul_f32 v6, v6, v120 :: v_dual_mul_f32 v151, v8, v123
	v_mul_f32_e32 v8, v8, v122
	v_mul_f32_e32 v152, v30, v125
	v_dual_mul_f32 v30, v30, v124 :: v_dual_mul_f32 v153, v32, v131
	v_mul_f32_e32 v32, v32, v130
	v_mul_f32_e32 v154, v26, v133
	;; [unrolled: 1-line block ×6, first 2 shown]
	v_dual_mul_f32 v22, v22, v141 :: v_dual_mul_f32 v157, v24, v146
	v_mul_f32_e32 v24, v24, v145
	v_mul_f32_e32 v158, v93, v148
	;; [unrolled: 1-line block ×3, first 2 shown]
	v_fmac_f32_e32 v4, v17, v108
	v_fma_f32 v17, v17, v109, -v18
	v_fmac_f32_e32 v89, v19, v110
	v_fma_f32 v18, v19, v111, -v20
	;; [unrolled: 2-line block ×15, first 2 shown]
	v_sub_f32_e32 v20, v106, v151
	v_sub_f32_e32 v6, v107, v6
	v_dual_sub_f32 v21, v91, v155 :: v_dual_sub_f32 v12, v14, v12
	v_sub_f32_e32 v22, v89, v153
	v_dual_sub_f32 v8, v18, v8 :: v_dual_sub_f32 v23, v149, v157
	;; [unrolled: 2-line block ×4, first 2 shown]
	v_sub_f32_e32 v11, v13, v11
	v_sub_f32_e32 v27, v150, v158
	;; [unrolled: 1-line block ×3, first 2 shown]
	v_fma_f32 v28, v106, 2.0, -v20
	v_fma_f32 v29, v107, 2.0, -v6
	;; [unrolled: 1-line block ×13, first 2 shown]
	v_dual_add_f32 v12, v20, v12 :: v_dual_sub_f32 v21, v6, v21
	v_dual_add_f32 v16, v22, v16 :: v_dual_sub_f32 v23, v8, v23
	v_add_f32_e32 v15, v24, v15
	v_sub_f32_e32 v25, v7, v25
	v_add_f32_e32 v19, v26, v19
	v_sub_f32_e32 v27, v11, v27
	v_fma_f32 v18, v18, 2.0, -v8
	v_fma_f32 v17, v17, 2.0, -v7
	;; [unrolled: 1-line block ×3, first 2 shown]
	v_sub_f32_e32 v30, v28, v30
	v_sub_f32_e32 v14, v29, v14
	v_fma_f32 v20, v20, 2.0, -v12
	v_fma_f32 v92, v6, 2.0, -v21
	v_sub_f32_e32 v6, v31, v32
	v_fma_f32 v22, v22, 2.0, -v16
	v_fma_f32 v8, v8, 2.0, -v23
	;; [unrolled: 3-line block ×4, first 2 shown]
	v_dual_fmamk_f32 v91, v16, 0x3f3504f3, v12 :: v_dual_sub_f32 v10, v18, v10
	v_sub_f32_e32 v9, v17, v9
	v_sub_f32_e32 v5, v13, v5
	v_fmamk_f32 v93, v23, 0x3f3504f3, v21
	v_fmamk_f32 v106, v19, 0x3f3504f3, v15
	;; [unrolled: 1-line block ×3, first 2 shown]
	v_fma_f32 v28, v28, 2.0, -v30
	v_fma_f32 v31, v31, 2.0, -v6
	;; [unrolled: 1-line block ×4, first 2 shown]
	v_fmamk_f32 v90, v22, 0xbf3504f3, v20
	v_fmamk_f32 v109, v8, 0xbf3504f3, v92
	v_sub_f32_e32 v111, v14, v6
	v_fmac_f32_e32 v91, 0x3f3504f3, v23
	v_dual_fmamk_f32 v23, v26, 0xbf3504f3, v24 :: v_dual_fmamk_f32 v112, v11, 0xbf3504f3, v89
	v_fma_f32 v29, v29, 2.0, -v14
	v_fma_f32 v18, v18, 2.0, -v10
	;; [unrolled: 1-line block ×4, first 2 shown]
	v_dual_add_f32 v110, v30, v10 :: v_dual_fmac_f32 v93, 0xbf3504f3, v16
	v_dual_add_f32 v16, v32, v5 :: v_dual_sub_f32 v113, v9, v7
	v_fmac_f32_e32 v106, 0x3f3504f3, v27
	v_fmac_f32_e32 v107, 0xbf3504f3, v19
	v_dual_sub_f32 v27, v28, v31 :: v_dual_fmac_f32 v90, 0x3f3504f3, v8
	v_fmac_f32_e32 v109, 0xbf3504f3, v22
	v_fma_f32 v114, v14, 2.0, -v111
	v_dual_sub_f32 v14, v108, v4 :: v_dual_fmac_f32 v23, 0x3f3504f3, v11
	v_fmac_f32_e32 v112, 0xbf3504f3, v26
	v_sub_f32_e32 v31, v29, v18
	v_fma_f32 v115, v12, 2.0, -v91
	v_sub_f32_e32 v12, v17, v13
	v_fma_f32 v30, v30, 2.0, -v110
	v_fma_f32 v116, v21, 2.0, -v93
	v_fma_f32 v21, v32, 2.0, -v16
	v_fma_f32 v22, v9, 2.0, -v113
	v_fma_f32 v26, v15, 2.0, -v106
	v_fma_f32 v25, v25, 2.0, -v107
	v_fmamk_f32 v5, v113, 0x3f3504f3, v111
	v_fma_f32 v28, v28, 2.0, -v27
	v_fma_f32 v32, v20, 2.0, -v90
	;; [unrolled: 1-line block ×6, first 2 shown]
	v_fmamk_f32 v4, v16, 0x3f3504f3, v110
	v_fmamk_f32 v6, v106, 0x3f6c835e, v91
	;; [unrolled: 1-line block ×3, first 2 shown]
	v_fma_f32 v29, v29, 2.0, -v31
	v_fma_f32 v17, v17, 2.0, -v12
	v_sub_f32_e32 v13, v31, v14
	v_dual_fmamk_f32 v14, v23, 0x3ec3ef15, v90 :: v_dual_fmamk_f32 v15, v112, 0x3ec3ef15, v109
	v_fmamk_f32 v8, v21, 0xbf3504f3, v30
	v_fmamk_f32 v9, v22, 0xbf3504f3, v114
	v_dual_fmamk_f32 v10, v26, 0xbec3ef15, v115 :: v_dual_fmamk_f32 v11, v25, 0xbec3ef15, v116
	v_dual_fmac_f32 v5, 0xbf3504f3, v16 :: v_dual_sub_f32 v16, v28, v18
	v_fmamk_f32 v18, v108, 0xbf6c835e, v32
	v_fmamk_f32 v19, v89, 0xbf6c835e, v92
	v_fmac_f32_e32 v4, 0x3f3504f3, v113
	v_fmac_f32_e32 v6, 0x3ec3ef15, v107
	v_dual_fmac_f32 v7, 0xbec3ef15, v106 :: v_dual_add_f32 v12, v27, v12
	v_dual_sub_f32 v17, v29, v17 :: v_dual_fmac_f32 v14, 0x3f6c835e, v112
	v_fmac_f32_e32 v15, 0xbf6c835e, v23
	v_fmac_f32_e32 v8, 0x3f3504f3, v22
	;; [unrolled: 1-line block ×7, first 2 shown]
	v_fma_f32 v22, v110, 2.0, -v4
	v_fma_f32 v23, v111, 2.0, -v5
	;; [unrolled: 1-line block ×6, first 2 shown]
	ds_store_2addr_stride64_b64 v144, v[4:5], v[6:7] offset0:14 offset1:15
	v_fma_f32 v4, v28, 2.0, -v16
	v_fma_f32 v5, v29, 2.0, -v17
	;; [unrolled: 1-line block ×8, first 2 shown]
	ds_store_2addr_stride64_b64 v144, v[12:13], v[14:15] offset0:12 offset1:13
	ds_store_2addr_stride64_b64 v144, v[22:23], v[24:25] offset0:6 offset1:7
	v_fma_f32 v12, v32, 2.0, -v18
	v_fma_f32 v13, v92, 2.0, -v19
	ds_store_2addr_stride64_b64 v144, v[8:9], v[10:11] offset0:10 offset1:11
	ds_store_2addr_stride64_b64 v144, v[20:21], v[28:29] offset0:4 offset1:5
	;; [unrolled: 1-line block ×4, first 2 shown]
	ds_store_2addr_stride64_b64 v144, v[4:5], v[12:13] offset1:1
	global_wb scope:SCOPE_SE
	s_wait_dscnt 0x0
	s_barrier_signal -1
	s_barrier_wait -1
	global_inv scope:SCOPE_SE
	ds_load_2addr_stride64_b64 v[4:7], v138 offset0:16 offset1:24
	ds_load_2addr_stride64_b64 v[8:11], v138 offset0:32 offset1:40
	;; [unrolled: 1-line block ×7, first 2 shown]
	ds_load_2addr_stride64_b64 v[89:92], v138 offset1:8
	v_add_co_u32 v0, vcc_lo, v104, s0
	s_wait_alu 0xfffd
	v_add_co_ci_u32_e32 v1, vcc_lo, s1, v105, vcc_lo
	s_delay_alu instid0(VALU_DEP_2) | instskip(SKIP_1) | instid1(VALU_DEP_2)
	v_add_co_u32 v2, vcc_lo, v0, s0
	s_wait_alu 0xfffd
	v_add_co_ci_u32_e32 v3, vcc_lo, s1, v1, vcc_lo
	s_delay_alu instid0(VALU_DEP_2) | instskip(SKIP_1) | instid1(VALU_DEP_2)
	v_add_co_u32 v106, vcc_lo, v2, s0
	s_wait_alu 0xfffd
	v_add_co_ci_u32_e32 v107, vcc_lo, s1, v3, vcc_lo
	s_wait_dscnt 0x7
	v_mul_f32_e32 v117, v54, v7
	v_mul_f32_e32 v54, v54, v6
	s_wait_dscnt 0x6
	v_mul_f32_e32 v118, v56, v11
	s_wait_dscnt 0x5
	v_dual_mul_f32 v56, v56, v10 :: v_dual_mul_f32 v119, v50, v15
	v_mul_f32_e32 v50, v50, v14
	s_wait_dscnt 0x4
	v_mul_f32_e32 v120, v52, v19
	s_wait_dscnt 0x2
	v_mul_f32_e32 v122, v48, v27
	v_mul_f32_e32 v48, v48, v26
	v_dual_mul_f32 v52, v52, v18 :: v_dual_mul_f32 v121, v46, v23
	s_wait_dscnt 0x1
	v_dual_mul_f32 v46, v46, v22 :: v_dual_mul_f32 v123, v97, v31
	v_fmac_f32_e32 v117, v53, v6
	v_fma_f32 v6, v53, v7, -v54
	v_fmac_f32_e32 v118, v55, v10
	v_fma_f32 v7, v55, v11, -v56
	v_fma_f32 v10, v49, v15, -v50
	v_fmac_f32_e32 v120, v51, v18
	v_fma_f32 v15, v47, v27, -v48
	v_mul_f32_e32 v93, v44, v9
	v_mul_f32_e32 v112, v38, v13
	v_dual_mul_f32 v38, v38, v12 :: v_dual_mul_f32 v115, v36, v25
	v_dual_mul_f32 v36, v36, v24 :: v_dual_fmac_f32 v119, v49, v14
	v_fma_f32 v11, v51, v19, -v52
	v_fmac_f32_e32 v121, v45, v22
	v_fma_f32 v14, v45, v23, -v46
	v_fmac_f32_e32 v122, v47, v26
	s_wait_dscnt 0x0
	v_dual_fmac_f32 v123, v96, v30 :: v_dual_sub_f32 v22, v91, v120
	v_dual_sub_f32 v15, v7, v15 :: v_dual_mul_f32 v32, v42, v5
	v_mul_f32_e32 v42, v42, v4
	v_mul_f32_e32 v44, v44, v8
	;; [unrolled: 1-line block ×4, first 2 shown]
	v_fmac_f32_e32 v93, v43, v8
	v_fma_f32 v8, v37, v13, -v38
	v_fma_f32 v13, v35, v25, -v36
	v_sub_f32_e32 v11, v92, v11
	v_sub_f32_e32 v23, v118, v122
	v_dual_sub_f32 v14, v6, v14 :: v_dual_sub_f32 v25, v119, v123
	v_add_f32_e32 v36, v22, v15
	v_mul_f32_e32 v116, v95, v29
	v_fmac_f32_e32 v32, v41, v4
	v_fma_f32 v4, v41, v5, -v42
	v_fmac_f32_e32 v112, v37, v12
	v_fmac_f32_e32 v114, v33, v20
	v_fma_f32 v12, v33, v21, -v34
	v_fma_f32 v33, v118, 2.0, -v23
	v_sub_f32_e32 v37, v11, v23
	v_sub_f32_e32 v23, v14, v25
	v_mul_f32_e32 v113, v40, v17
	v_fma_f32 v42, v22, 2.0, -v36
	v_mul_f32_e32 v95, v95, v28
	v_mul_f32_e32 v40, v40, v16
	v_fma_f32 v5, v43, v9, -v44
	v_fmac_f32_e32 v113, v39, v16
	v_mul_f32_e32 v97, v97, v30
	v_fma_f32 v16, v94, v29, -v95
	s_delay_alu instid0(VALU_DEP_4) | instskip(NEXT) | instid1(VALU_DEP_4)
	v_dual_fmac_f32 v116, v94, v28 :: v_dual_sub_f32 v13, v5, v13
	v_sub_f32_e32 v18, v89, v113
	v_sub_f32_e32 v20, v32, v114
	s_delay_alu instid0(VALU_DEP_4)
	v_sub_f32_e32 v16, v8, v16
	v_fma_f32 v9, v39, v17, -v40
	v_fma_f32 v17, v96, v31, -v97
	v_sub_f32_e32 v12, v4, v12
	v_sub_f32_e32 v21, v112, v116
	v_fma_f32 v5, v5, 2.0, -v13
	v_add_f32_e32 v31, v18, v13
	v_add_f32_e32 v13, v20, v16
	v_fma_f32 v29, v32, 2.0, -v20
	v_fma_f32 v30, v4, 2.0, -v12
	;; [unrolled: 1-line block ×3, first 2 shown]
	v_sub_f32_e32 v16, v12, v21
	v_fma_f32 v38, v18, 2.0, -v31
	v_fma_f32 v20, v20, 2.0, -v13
	;; [unrolled: 1-line block ×3, first 2 shown]
	v_sub_f32_e32 v18, v30, v8
	v_fma_f32 v40, v12, 2.0, -v16
	s_delay_alu instid0(VALU_DEP_4) | instskip(SKIP_3) | instid1(VALU_DEP_4)
	v_dual_sub_f32 v9, v90, v9 :: v_dual_fmamk_f32 v8, v20, 0xbf3504f3, v38
	v_sub_f32_e32 v17, v10, v17
	v_fma_f32 v4, v112, 2.0, -v21
	v_fma_f32 v21, v92, 2.0, -v11
	;; [unrolled: 1-line block ×3, first 2 shown]
	v_fmac_f32_e32 v8, 0x3f3504f3, v40
	v_dual_fmac_f32 v115, v35, v24 :: v_dual_sub_f32 v24, v117, v121
	v_fma_f32 v7, v7, 2.0, -v15
	v_fma_f32 v35, v6, 2.0, -v14
	;; [unrolled: 1-line block ×3, first 2 shown]
	s_delay_alu instid0(VALU_DEP_4)
	v_sub_f32_e32 v19, v93, v115
	v_fma_f32 v34, v117, 2.0, -v24
	v_fma_f32 v10, v10, 2.0, -v17
	v_add_f32_e32 v17, v24, v17
	v_sub_f32_e32 v15, v29, v4
	v_fma_f32 v28, v93, 2.0, -v19
	v_sub_f32_e32 v32, v9, v19
	v_fma_f32 v19, v91, 2.0, -v22
	;; [unrolled: 2-line block ×3, first 2 shown]
	v_dual_sub_f32 v25, v26, v28 :: v_dual_sub_f32 v28, v27, v5
	v_fmamk_f32 v5, v16, 0x3f3504f3, v32
	v_dual_sub_f32 v33, v19, v33 :: v_dual_sub_f32 v22, v34, v6
	v_sub_f32_e32 v44, v35, v10
	v_fma_f32 v24, v24, 2.0, -v17
	v_fma_f32 v45, v14, 2.0, -v23
	;; [unrolled: 1-line block ×3, first 2 shown]
	v_fmamk_f32 v4, v13, 0x3f3504f3, v31
	v_dual_fmamk_f32 v6, v17, 0x3f3504f3, v36 :: v_dual_fmamk_f32 v7, v23, 0x3f3504f3, v37
	v_fma_f32 v46, v26, 2.0, -v25
	v_fma_f32 v47, v27, 2.0, -v28
	;; [unrolled: 1-line block ×4, first 2 shown]
	v_fmac_f32_e32 v5, 0xbf3504f3, v13
	v_fma_f32 v29, v19, 2.0, -v33
	v_fma_f32 v30, v21, 2.0, -v41
	;; [unrolled: 1-line block ×4, first 2 shown]
	v_dual_fmamk_f32 v12, v24, 0xbf3504f3, v42 :: v_dual_fmamk_f32 v13, v45, 0xbf3504f3, v43
	v_dual_fmamk_f32 v9, v40, 0xbf3504f3, v39 :: v_dual_add_f32 v10, v25, v18
	v_dual_sub_f32 v11, v28, v15 :: v_dual_add_f32 v14, v33, v44
	v_dual_sub_f32 v15, v41, v22 :: v_dual_fmac_f32 v4, 0x3f3504f3, v16
	v_fmac_f32_e32 v6, 0x3f3504f3, v23
	v_dual_fmac_f32 v7, 0xbf3504f3, v17 :: v_dual_sub_f32 v16, v46, v26
	v_dual_sub_f32 v17, v47, v27 :: v_dual_sub_f32 v22, v29, v34
	v_dual_sub_f32 v23, v30, v35 :: v_dual_fmac_f32 v12, 0x3f3504f3, v45
	v_fmac_f32_e32 v13, 0xbf3504f3, v24
	v_fmac_f32_e32 v9, 0xbf3504f3, v20
	v_fma_f32 v18, v25, 2.0, -v10
	v_fma_f32 v19, v28, 2.0, -v11
	;; [unrolled: 1-line block ×8, first 2 shown]
	ds_store_2addr_stride64_b64 v138, v[10:11], v[14:15] offset0:96 offset1:104
	ds_store_2addr_stride64_b64 v138, v[4:5], v[6:7] offset0:112 offset1:120
	v_fma_f32 v4, v46, 2.0, -v16
	v_fma_f32 v5, v47, 2.0, -v17
	;; [unrolled: 1-line block ×8, first 2 shown]
	ds_store_2addr_stride64_b64 v138, v[18:19], v[24:25] offset0:32 offset1:40
	ds_store_2addr_stride64_b64 v138, v[20:21], v[26:27] offset0:48 offset1:56
	;; [unrolled: 1-line block ×4, first 2 shown]
	ds_store_2addr_stride64_b64 v138, v[4:5], v[10:11] offset1:8
	ds_store_2addr_stride64_b64 v138, v[6:7], v[14:15] offset0:16 offset1:24
	global_wb scope:SCOPE_SE
	s_wait_dscnt 0x0
	s_barrier_signal -1
	s_barrier_wait -1
	global_inv scope:SCOPE_SE
	ds_load_2addr_stride64_b64 v[8:11], v138 offset0:16 offset1:24
	ds_load_2addr_stride64_b64 v[12:15], v138 offset0:32 offset1:40
	ds_load_2addr_stride64_b64 v[4:7], v138 offset1:8
	ds_load_2addr_stride64_b64 v[16:19], v138 offset0:48 offset1:56
	ds_load_2addr_stride64_b64 v[20:23], v138 offset0:64 offset1:72
	;; [unrolled: 1-line block ×5, first 2 shown]
	v_add_co_u32 v108, vcc_lo, v106, s0
	s_wait_alu 0xfffd
	v_add_co_ci_u32_e32 v109, vcc_lo, s1, v107, vcc_lo
	s_delay_alu instid0(VALU_DEP_2) | instskip(SKIP_1) | instid1(VALU_DEP_2)
	v_add_co_u32 v110, vcc_lo, v108, s0
	s_wait_alu 0xfffd
	v_add_co_ci_u32_e32 v111, vcc_lo, s1, v109, vcc_lo
	s_delay_alu instid0(VALU_DEP_2) | instskip(SKIP_1) | instid1(VALU_DEP_2)
	v_add_co_u32 v36, vcc_lo, v110, s0
	s_wait_alu 0xfffd
	v_add_co_ci_u32_e32 v37, vcc_lo, s1, v111, vcc_lo
	s_wait_dscnt 0x7
	v_mul_f32_e32 v48, v64, v11
	s_wait_dscnt 0x6
	v_mul_f32_e32 v52, v68, v15
	;; [unrolled: 2-line block ×3, first 2 shown]
	v_mul_f32_e32 v46, v62, v9
	v_mul_f32_e32 v50, v66, v13
	v_fmac_f32_e32 v48, v63, v10
	s_wait_dscnt 0x3
	v_dual_mul_f32 v45, v60, v6 :: v_dual_mul_f32 v60, v74, v21
	v_fmac_f32_e32 v52, v67, v14
	v_mul_f32_e32 v49, v64, v10
	v_mul_f32_e32 v64, v76, v23
	;; [unrolled: 1-line block ×5, first 2 shown]
	v_fmac_f32_e32 v46, v61, v8
	v_mul_f32_e32 v43, v58, v4
	s_wait_dscnt 0x0
	v_dual_fmac_f32 v60, v73, v20 :: v_dual_mul_f32 v89, v88, v35
	v_fmac_f32_e32 v64, v75, v22
	v_fmac_f32_e32 v50, v65, v12
	v_mul_f32_e32 v47, v62, v8
	v_fmac_f32_e32 v54, v69, v16
	v_dual_mul_f32 v51, v66, v12 :: v_dual_mul_f32 v58, v72, v18
	v_mul_f32_e32 v62, v74, v20
	v_mul_f32_e32 v66, v76, v22
	;; [unrolled: 1-line block ×7, first 2 shown]
	v_fmac_f32_e32 v42, v57, v4
	v_fmac_f32_e32 v56, v71, v18
	v_dual_mul_f32 v53, v68, v14 :: v_dual_mul_f32 v68, v78, v25
	v_mul_f32_e32 v8, 0x39000000, v46
	v_fma_f32 v5, v57, v5, -v43
	s_delay_alu instid0(VALU_DEP_4)
	v_mul_f32_e32 v18, 0x39000000, v56
	v_dual_mul_f32 v20, 0x39000000, v60 :: v_dual_fmac_f32 v89, v87, v34
	v_mul_f32_e32 v22, 0x39000000, v64
	v_mul_f32_e32 v55, v70, v16
	;; [unrolled: 1-line block ×8, first 2 shown]
	v_fmac_f32_e32 v44, v59, v6
	v_mul_f32_e32 v10, 0x39000000, v48
	v_fma_f32 v7, v59, v7, -v45
	v_mul_f32_e32 v12, 0x39000000, v50
	v_fma_f32 v9, v61, v9, -v47
	v_add_co_u32 v38, vcc_lo, v36, s0
	v_mul_f32_e32 v14, 0x39000000, v52
	v_fma_f32 v11, v63, v11, -v49
	v_mul_f32_e32 v16, 0x39000000, v54
	v_fma_f32 v13, v65, v13, -v51
	s_wait_alu 0xfffd
	v_add_co_ci_u32_e32 v39, vcc_lo, s1, v37, vcc_lo
	v_fma_f32 v15, v67, v15, -v53
	v_fma_f32 v17, v69, v17, -v55
	;; [unrolled: 1-line block ×5, first 2 shown]
	v_fmac_f32_e32 v68, v77, v24
	v_fma_f32 v25, v77, v25, -v70
	v_fmac_f32_e32 v72, v79, v26
	v_fma_f32 v27, v79, v27, -v74
	;; [unrolled: 2-line block ×5, first 2 shown]
	v_fma_f32 v35, v87, v35, -v88
	v_dual_mul_f32 v4, 0x39000000, v42 :: v_dual_mul_f32 v5, 0x39000000, v5
	v_mul_f32_e32 v24, 0x39000000, v68
	v_dual_mul_f32 v6, 0x39000000, v44 :: v_dual_mul_f32 v7, 0x39000000, v7
	v_dual_mul_f32 v26, 0x39000000, v72 :: v_dual_mul_f32 v9, 0x39000000, v9
	v_mul_f32_e32 v28, 0x39000000, v76
	v_add_co_u32 v40, vcc_lo, v38, s0
	v_dual_mul_f32 v11, 0x39000000, v11 :: v_dual_mul_f32 v30, 0x39000000, v80
	v_dual_mul_f32 v13, 0x39000000, v13 :: v_dual_mul_f32 v32, 0x39000000, v84
	s_wait_alu 0xfffd
	v_add_co_ci_u32_e32 v41, vcc_lo, s1, v39, vcc_lo
	v_mul_f32_e32 v15, 0x39000000, v15
	v_mul_f32_e32 v17, 0x39000000, v17
	;; [unrolled: 1-line block ×11, first 2 shown]
	s_clause 0x4
	global_store_b64 v[126:127], v[4:5], off
	global_store_b64 v[128:129], v[6:7], off
	;; [unrolled: 1-line block ×16, first 2 shown]
.LBB0_2:
	s_nop 0
	s_sendmsg sendmsg(MSG_DEALLOC_VGPRS)
	s_endpgm
	.section	.rodata,"a",@progbits
	.p2align	6, 0x0
	.amdhsa_kernel bluestein_single_back_len8192_dim1_sp_op_CI_CI
		.amdhsa_group_segment_fixed_size 65536
		.amdhsa_private_segment_fixed_size 0
		.amdhsa_kernarg_size 104
		.amdhsa_user_sgpr_count 2
		.amdhsa_user_sgpr_dispatch_ptr 0
		.amdhsa_user_sgpr_queue_ptr 0
		.amdhsa_user_sgpr_kernarg_segment_ptr 1
		.amdhsa_user_sgpr_dispatch_id 0
		.amdhsa_user_sgpr_private_segment_size 0
		.amdhsa_wavefront_size32 1
		.amdhsa_uses_dynamic_stack 0
		.amdhsa_enable_private_segment 0
		.amdhsa_system_sgpr_workgroup_id_x 1
		.amdhsa_system_sgpr_workgroup_id_y 0
		.amdhsa_system_sgpr_workgroup_id_z 0
		.amdhsa_system_sgpr_workgroup_info 0
		.amdhsa_system_vgpr_workitem_id 0
		.amdhsa_next_free_vgpr 179
		.amdhsa_next_free_sgpr 20
		.amdhsa_reserve_vcc 1
		.amdhsa_float_round_mode_32 0
		.amdhsa_float_round_mode_16_64 0
		.amdhsa_float_denorm_mode_32 3
		.amdhsa_float_denorm_mode_16_64 3
		.amdhsa_fp16_overflow 0
		.amdhsa_workgroup_processor_mode 1
		.amdhsa_memory_ordered 1
		.amdhsa_forward_progress 0
		.amdhsa_round_robin_scheduling 0
		.amdhsa_exception_fp_ieee_invalid_op 0
		.amdhsa_exception_fp_denorm_src 0
		.amdhsa_exception_fp_ieee_div_zero 0
		.amdhsa_exception_fp_ieee_overflow 0
		.amdhsa_exception_fp_ieee_underflow 0
		.amdhsa_exception_fp_ieee_inexact 0
		.amdhsa_exception_int_div_zero 0
	.end_amdhsa_kernel
	.text
.Lfunc_end0:
	.size	bluestein_single_back_len8192_dim1_sp_op_CI_CI, .Lfunc_end0-bluestein_single_back_len8192_dim1_sp_op_CI_CI
                                        ; -- End function
	.section	.AMDGPU.csdata,"",@progbits
; Kernel info:
; codeLenInByte = 13172
; NumSgprs: 22
; NumVgprs: 179
; ScratchSize: 0
; MemoryBound: 0
; FloatMode: 240
; IeeeMode: 1
; LDSByteSize: 65536 bytes/workgroup (compile time only)
; SGPRBlocks: 2
; VGPRBlocks: 22
; NumSGPRsForWavesPerEU: 22
; NumVGPRsForWavesPerEU: 179
; Occupancy: 8
; WaveLimiterHint : 1
; COMPUTE_PGM_RSRC2:SCRATCH_EN: 0
; COMPUTE_PGM_RSRC2:USER_SGPR: 2
; COMPUTE_PGM_RSRC2:TRAP_HANDLER: 0
; COMPUTE_PGM_RSRC2:TGID_X_EN: 1
; COMPUTE_PGM_RSRC2:TGID_Y_EN: 0
; COMPUTE_PGM_RSRC2:TGID_Z_EN: 0
; COMPUTE_PGM_RSRC2:TIDIG_COMP_CNT: 0
	.text
	.p2alignl 7, 3214868480
	.fill 96, 4, 3214868480
	.type	__hip_cuid_f27f4340a2750787,@object ; @__hip_cuid_f27f4340a2750787
	.section	.bss,"aw",@nobits
	.globl	__hip_cuid_f27f4340a2750787
__hip_cuid_f27f4340a2750787:
	.byte	0                               ; 0x0
	.size	__hip_cuid_f27f4340a2750787, 1

	.ident	"AMD clang version 19.0.0git (https://github.com/RadeonOpenCompute/llvm-project roc-6.4.0 25133 c7fe45cf4b819c5991fe208aaa96edf142730f1d)"
	.section	".note.GNU-stack","",@progbits
	.addrsig
	.addrsig_sym __hip_cuid_f27f4340a2750787
	.amdgpu_metadata
---
amdhsa.kernels:
  - .args:
      - .actual_access:  read_only
        .address_space:  global
        .offset:         0
        .size:           8
        .value_kind:     global_buffer
      - .actual_access:  read_only
        .address_space:  global
        .offset:         8
        .size:           8
        .value_kind:     global_buffer
      - .actual_access:  read_only
        .address_space:  global
        .offset:         16
        .size:           8
        .value_kind:     global_buffer
      - .actual_access:  read_only
        .address_space:  global
        .offset:         24
        .size:           8
        .value_kind:     global_buffer
      - .actual_access:  read_only
        .address_space:  global
        .offset:         32
        .size:           8
        .value_kind:     global_buffer
      - .offset:         40
        .size:           8
        .value_kind:     by_value
      - .address_space:  global
        .offset:         48
        .size:           8
        .value_kind:     global_buffer
      - .address_space:  global
        .offset:         56
        .size:           8
        .value_kind:     global_buffer
      - .address_space:  global
        .offset:         64
        .size:           8
        .value_kind:     global_buffer
      - .address_space:  global
        .offset:         72
        .size:           8
        .value_kind:     global_buffer
      - .offset:         80
        .size:           4
        .value_kind:     by_value
      - .address_space:  global
        .offset:         88
        .size:           8
        .value_kind:     global_buffer
      - .address_space:  global
        .offset:         96
        .size:           8
        .value_kind:     global_buffer
    .group_segment_fixed_size: 65536
    .kernarg_segment_align: 8
    .kernarg_segment_size: 104
    .language:       OpenCL C
    .language_version:
      - 2
      - 0
    .max_flat_workgroup_size: 512
    .name:           bluestein_single_back_len8192_dim1_sp_op_CI_CI
    .private_segment_fixed_size: 0
    .sgpr_count:     22
    .sgpr_spill_count: 0
    .symbol:         bluestein_single_back_len8192_dim1_sp_op_CI_CI.kd
    .uniform_work_group_size: 1
    .uses_dynamic_stack: false
    .vgpr_count:     179
    .vgpr_spill_count: 0
    .wavefront_size: 32
    .workgroup_processor_mode: 1
amdhsa.target:   amdgcn-amd-amdhsa--gfx1201
amdhsa.version:
  - 1
  - 2
...

	.end_amdgpu_metadata
